;; amdgpu-corpus repo=zjin-lcf/HeCBench kind=compiled arch=gfx90a opt=O3
	.text
	.amdgcn_target "amdgcn-amd-amdhsa--gfx90a"
	.amdhsa_code_object_version 6
	.protected	_Z15test_keystreamsPKcS0_S0_PKhPhS3_S3_S3_iii ; -- Begin function _Z15test_keystreamsPKcS0_S0_PKhPhS3_S3_S3_iii
	.globl	_Z15test_keystreamsPKcS0_S0_PKhPhS3_S3_S3_iii
	.p2align	8
	.type	_Z15test_keystreamsPKcS0_S0_PKhPhS3_S3_S3_iii,@function
_Z15test_keystreamsPKcS0_S0_PKhPhS3_S3_S3_iii: ; @_Z15test_keystreamsPKcS0_S0_PKhPhS3_S3_S3_iii
; %bb.0:
	s_load_dwordx4 s[24:27], s[4:5], 0x40
	s_load_dwordx4 s[20:23], s[4:5], 0x18
	s_load_dwordx2 s[28:29], s[4:5], 0x28
	s_add_u32 s0, s0, s9
	s_addc_u32 s1, s1, 0
	s_waitcnt lgkmcnt(0)
	s_lshr_b32 s6, s24, 31
	s_add_i32 s6, s24, s6
	s_ashr_i32 s24, s6, 1
	v_mov_b32_e32 v10, v0
	v_cmp_gt_i32_e32 vcc, s24, v0
	s_and_saveexec_b64 s[30:31], vcc
	s_cbranch_execz .LBB0_8
; %bb.1:
	s_load_dword s8, s[4:5], 0x5c
	s_load_dwordx2 s[34:35], s[4:5], 0x0
	s_waitcnt lgkmcnt(0)
	s_and_b32 s27, s8, 0xffff
	v_cvt_f32_u32_e32 v1, s27
	v_add_u32_e32 v2, s27, v0
	v_mov_b32_e32 v3, s27
	s_sub_i32 s9, 0, s27
	v_rcp_iflag_f32_e32 v1, v1
	v_cmp_gt_i32_e32 vcc, s24, v2
	v_max_i32_e32 v4, s24, v2
	v_addc_co_u32_e64 v2, s[6:7], v0, v3, vcc
	v_mul_f32_e32 v1, 0x4f7ffffe, v1
	v_cvt_u32_f32_e32 v1, v1
	v_sub_u32_e32 v2, v4, v2
	v_mul_lo_u32 v3, s9, v1
	v_mul_hi_u32 v3, v1, v3
	v_add_u32_e32 v1, v1, v3
	v_mul_hi_u32 v1, v2, v1
	v_mul_lo_u32 v3, v1, s27
	v_sub_u32_e32 v2, v2, v3
	v_add_u32_e32 v4, 1, v1
	v_cmp_le_u32_e64 s[6:7], s27, v2
	v_subrev_u32_e32 v3, s27, v2
	v_cndmask_b32_e64 v1, v1, v4, s[6:7]
	v_cndmask_b32_e64 v2, v2, v3, s[6:7]
	v_add_u32_e32 v3, 1, v1
	v_cmp_le_u32_e64 s[6:7], s27, v2
	v_cndmask_b32_e64 v1, v1, v3, s[6:7]
	v_addc_co_u32_e32 v11, vcc, 1, v1, vcc
	v_cmp_lt_u32_e32 vcc, 7, v11
	v_cmp_eq_u16_e64 s[6:7], s8, 1
	s_and_b64 s[8:9], vcc, s[6:7]
	s_mov_b64 s[6:7], -1
	v_mov_b32_e32 v2, v10
	s_and_saveexec_b64 s[36:37], s[8:9]
	s_cbranch_execz .LBB0_5
; %bb.2:
	v_add_u32_e32 v7, 7, v0
	v_add_u32_e32 v6, 6, v0
	;; [unrolled: 1-line block ×6, first 2 shown]
	v_and_b32_e32 v12, -8, v11
	v_add_u32_e32 v1, 1, v0
	v_pk_mov_b32 v[8:9], v[6:7], v[6:7] op_sel:[0,1]
	s_mov_b64 s[38:39], 0
	v_mov_b32_e32 v13, s35
	v_mov_b32_e32 v14, s21
	;; [unrolled: 1-line block ×4, first 2 shown]
	v_pk_mov_b32 v[6:7], v[4:5], v[4:5] op_sel:[0,1]
	v_pk_mov_b32 v[4:5], v[2:3], v[2:3] op_sel:[0,1]
	;; [unrolled: 1-line block ×3, first 2 shown]
.LBB0_3:                                ; =>This Inner Loop Header: Depth=1
	v_lshlrev_b32_e32 v39, 1, v2
	v_add_co_u32_e32 v18, vcc, s34, v39
	v_lshlrev_b32_e32 v38, 1, v3
	v_addc_co_u32_e32 v19, vcc, 0, v13, vcc
	v_add_co_u32_e32 v20, vcc, s34, v38
	v_lshlrev_b32_e32 v37, 1, v4
	v_addc_co_u32_e32 v21, vcc, 0, v13, vcc
	;; [unrolled: 3-line block ×7, first 2 shown]
	v_add_co_u32_e32 v32, vcc, s34, v1
	v_addc_co_u32_e32 v33, vcc, 0, v13, vcc
	v_or_b32_e32 v39, 1, v39
	global_load_sbyte v40, v[32:33], off
	global_load_sbyte v41, v[30:31], off
	;; [unrolled: 1-line block ×8, first 2 shown]
	v_add_co_u32_e32 v18, vcc, s34, v39
	v_or_b32_e32 v38, 1, v38
	v_addc_co_u32_e32 v19, vcc, 0, v13, vcc
	v_add_co_u32_e32 v20, vcc, s34, v38
	v_or_b32_e32 v37, 1, v37
	v_addc_co_u32_e32 v21, vcc, 0, v13, vcc
	;; [unrolled: 3-line block ×7, first 2 shown]
	v_add_co_u32_e32 v32, vcc, s34, v1
	v_addc_co_u32_e32 v33, vcc, 0, v13, vcc
	global_load_sbyte v1, v[32:33], off
	global_load_sbyte v17, v[30:31], off
	;; [unrolled: 1-line block ×8, first 2 shown]
	v_add_u32_e32 v16, -8, v16
	v_add_u32_e32 v9, 8, v9
	v_add_u32_e32 v8, 8, v8
	;; [unrolled: 1-line block ×8, first 2 shown]
	s_waitcnt vmcnt(15)
	v_bfe_i32 v19, v40, 0, 16
	s_waitcnt vmcnt(14)
	v_bfe_i32 v21, v41, 0, 16
	;; [unrolled: 2-line block ×8, first 2 shown]
	v_ashrrev_i32_e32 v31, 31, v19
	v_ashrrev_i32_e32 v29, 31, v21
	;; [unrolled: 1-line block ×7, first 2 shown]
	v_add_co_u32_e32 v18, vcc, s20, v18
	v_add_co_u32_e64 v20, s[6:7], s20, v20
	v_add_co_u32_e64 v22, s[8:9], s20, v22
	;; [unrolled: 1-line block ×6, first 2 shown]
	v_ashrrev_i32_e32 v33, 31, v25
	v_add_co_u32_e64 v32, s[18:19], s20, v25
	v_addc_co_u32_e32 v19, vcc, v14, v43, vcc
	v_addc_co_u32_e64 v21, vcc, v14, v42, s[6:7]
	v_addc_co_u32_e64 v23, vcc, v14, v41, s[8:9]
	;; [unrolled: 1-line block ×4, first 2 shown]
	s_waitcnt vmcnt(5)
	v_bfe_i32 v44, v34, 0, 16
	v_addc_co_u32_e64 v29, vcc, v14, v29, s[14:15]
	v_addc_co_u32_e64 v31, vcc, v14, v31, s[16:17]
	s_waitcnt vmcnt(0)
	v_bfe_i32 v34, v39, 0, 16
	v_bfe_i32 v1, v1, 0, 16
	;; [unrolled: 1-line block ×7, first 2 shown]
	v_addc_co_u32_e64 v33, s[18:19], v14, v33, s[18:19]
	v_ashrrev_i32_e32 v50, 31, v44
	v_ashrrev_i32_e32 v52, 31, v34
	v_add_co_u32_e32 v34, vcc, s20, v34
	v_add_co_u32_e64 v44, s[14:15], s20, v44
	v_ashrrev_i32_e32 v49, 31, v1
	v_ashrrev_i32_e32 v47, 31, v17
	;; [unrolled: 1-line block ×6, first 2 shown]
	v_add_co_u32_e64 v36, s[6:7], s20, v36
	v_add_co_u32_e64 v38, s[8:9], s20, v37
	;; [unrolled: 1-line block ×6, first 2 shown]
	global_load_ubyte v1, v[32:33], off
	global_load_ubyte v17, v[18:19], off
	;; [unrolled: 1-line block ×8, first 2 shown]
	v_addc_co_u32_e32 v35, vcc, v14, v52, vcc
	v_addc_co_u32_e64 v45, vcc, v14, v50, s[14:15]
	v_addc_co_u32_e64 v37, vcc, v14, v51, s[6:7]
	;; [unrolled: 1-line block ×7, first 2 shown]
	global_load_ubyte v18, v[44:45], off
	global_load_ubyte v19, v[48:49], off
	global_load_ubyte v20, v[36:37], off
	global_load_ubyte v21, v[40:41], off
	global_load_ubyte v22, v[42:43], off
	global_load_ubyte v23, v[46:47], off
	global_load_ubyte v24, v[34:35], off
	global_load_ubyte v25, v[38:39], off
	v_cmp_eq_u32_e32 vcc, 0, v16
	s_or_b64 s[38:39], vcc, s[38:39]
	s_waitcnt vmcnt(15)
	v_lshlrev_b16_e32 v1, 4, v1
	s_waitcnt vmcnt(14)
	v_lshlrev_b16_e32 v17, 12, v17
	;; [unrolled: 2-line block ×8, first 2 shown]
	v_and_b32_e32 v26, 0xf0, v26
	v_and_b32_e32 v1, 0xf0, v1
	;; [unrolled: 1-line block ×4, first 2 shown]
	s_waitcnt vmcnt(7)
	v_lshlrev_b16_e32 v18, 8, v18
	s_waitcnt vmcnt(6)
	v_lshlrev_b16_e32 v19, 8, v19
	;; [unrolled: 2-line block ×4, first 2 shown]
	v_or_b32_e32 v18, v29, v18
	s_waitcnt vmcnt(3)
	v_or_b32_e32 v22, v22, v28
	v_or_b32_e32 v19, v30, v19
	s_waitcnt vmcnt(2)
	v_or_b32_e32 v23, v23, v27
	;; [unrolled: 3-line block ×4, first 2 shown]
	v_or_b32_e32 v18, v22, v18
	v_or_b32_sdwa v19, v23, v19 dst_sel:WORD_1 dst_unused:UNUSED_PAD src0_sel:DWORD src1_sel:DWORD
	v_or_b32_e32 v1, v1, v17
	v_or_b32_sdwa v17, v21, v20 dst_sel:WORD_1 dst_unused:UNUSED_PAD src0_sel:DWORD src1_sel:DWORD
	v_or_b32_sdwa v19, v18, v19 dst_sel:DWORD dst_unused:UNUSED_PAD src0_sel:WORD_0 src1_sel:DWORD
	v_or_b32_sdwa v18, v1, v17 dst_sel:DWORD dst_unused:UNUSED_PAD src0_sel:WORD_0 src1_sel:DWORD
	global_store_dwordx2 v15, v[18:19], s[22:23]
	v_add_u32_e32 v15, 8, v15
	s_andn2_b64 exec, exec, s[38:39]
	s_cbranch_execnz .LBB0_3
; %bb.4:
	s_or_b64 exec, exec, s[38:39]
	v_cmp_ne_u32_e32 vcc, v11, v12
	v_add_u32_e32 v2, v0, v12
	s_orn2_b64 s[6:7], vcc, exec
.LBB0_5:
	s_or_b64 exec, exec, s[36:37]
	s_and_b64 exec, exec, s[6:7]
	s_cbranch_execz .LBB0_8
; %bb.6:
	v_lshlrev_b32_e32 v3, 1, v2
	v_mov_b32_e32 v4, s35
	v_add_co_u32_e32 v3, vcc, s34, v3
	v_addc_co_u32_e32 v5, vcc, 0, v4, vcc
	s_mov_b32 s9, 0
	v_add_co_u32_e32 v4, vcc, 1, v3
	v_mov_b32_e32 v1, 0
	v_addc_co_u32_e32 v5, vcc, 0, v5, vcc
	s_lshl_b32 s8, s27, 1
	s_mov_b64 s[6:7], 0
	v_mov_b32_e32 v3, s21
	v_mov_b32_e32 v6, s23
	;; [unrolled: 1-line block ×4, first 2 shown]
.LBB0_7:                                ; =>This Inner Loop Header: Depth=1
	global_load_ushort v9, v[4:5], off offset:-1
	s_waitcnt vmcnt(0)
	v_lshrrev_b16_e32 v11, 8, v9
	v_bfe_i32 v9, v9, 0, 8
	v_ashrrev_i32_e32 v13, 31, v9
	v_add_co_u32_e32 v12, vcc, s20, v9
	v_bfe_i32 v11, v11, 0, 8
	v_addc_co_u32_e32 v13, vcc, v3, v13, vcc
	v_ashrrev_i32_e32 v9, 31, v11
	v_add_co_u32_e32 v14, vcc, s20, v11
	v_addc_co_u32_e32 v15, vcc, v3, v9, vcc
	global_load_ubyte v9, v[12:13], off
	global_load_ubyte v11, v[14:15], off
	v_add_co_u32_e32 v12, vcc, s22, v2
	v_addc_co_u32_e32 v13, vcc, v6, v1, vcc
	v_add_co_u32_e32 v2, vcc, s27, v2
	v_addc_co_u32_e32 v1, vcc, v1, v7, vcc
	;; [unrolled: 2-line block ×3, first 2 shown]
	v_cmp_le_i32_e32 vcc, s24, v2
	s_or_b64 s[6:7], vcc, s[6:7]
	s_waitcnt vmcnt(1)
	v_lshlrev_b16_e32 v9, 4, v9
	s_waitcnt vmcnt(0)
	v_or_b32_e32 v9, v11, v9
	global_store_byte v[12:13], v9, off
	s_andn2_b64 exec, exec, s[6:7]
	s_cbranch_execnz .LBB0_7
.LBB0_8:
	s_or_b64 exec, exec, s[30:31]
	s_lshr_b32 s6, s25, 31
	s_add_i32 s6, s25, s6
	s_ashr_i32 s27, s6, 1
	v_cmp_gt_i32_e32 vcc, s27, v0
	s_and_saveexec_b64 s[24:25], vcc
	s_cbranch_execz .LBB0_16
; %bb.9:
	s_load_dword s8, s[4:5], 0x5c
	s_load_dwordx2 s[30:31], s[4:5], 0x8
	s_waitcnt lgkmcnt(0)
	s_and_b32 s33, s8, 0xffff
	v_cvt_f32_u32_e32 v1, s33
	v_add_u32_e32 v2, s33, v0
	v_mov_b32_e32 v3, s33
	s_sub_i32 s9, 0, s33
	v_rcp_iflag_f32_e32 v1, v1
	v_cmp_gt_i32_e32 vcc, s27, v2
	v_max_i32_e32 v4, s27, v2
	v_addc_co_u32_e64 v2, s[6:7], v0, v3, vcc
	v_mul_f32_e32 v1, 0x4f7ffffe, v1
	v_cvt_u32_f32_e32 v1, v1
	v_sub_u32_e32 v2, v4, v2
	v_mul_lo_u32 v3, s9, v1
	v_mul_hi_u32 v3, v1, v3
	v_add_u32_e32 v1, v1, v3
	v_mul_hi_u32 v1, v2, v1
	v_mul_lo_u32 v3, v1, s33
	v_sub_u32_e32 v2, v2, v3
	v_add_u32_e32 v4, 1, v1
	v_cmp_le_u32_e64 s[6:7], s33, v2
	v_subrev_u32_e32 v3, s33, v2
	v_cndmask_b32_e64 v1, v1, v4, s[6:7]
	v_cndmask_b32_e64 v2, v2, v3, s[6:7]
	v_add_u32_e32 v3, 1, v1
	v_cmp_le_u32_e64 s[6:7], s33, v2
	v_cndmask_b32_e64 v1, v1, v3, s[6:7]
	v_addc_co_u32_e32 v11, vcc, 1, v1, vcc
	v_cmp_lt_u32_e32 vcc, 7, v11
	v_cmp_eq_u16_e64 s[6:7], s8, 1
	s_and_b64 s[8:9], vcc, s[6:7]
	s_mov_b64 s[6:7], -1
	v_mov_b32_e32 v2, v10
	s_and_saveexec_b64 s[34:35], s[8:9]
	s_cbranch_execz .LBB0_13
; %bb.10:
	v_add_u32_e32 v7, 7, v0
	v_add_u32_e32 v6, 6, v0
	;; [unrolled: 1-line block ×6, first 2 shown]
	v_and_b32_e32 v12, -8, v11
	v_add_u32_e32 v1, 1, v0
	v_pk_mov_b32 v[8:9], v[6:7], v[6:7] op_sel:[0,1]
	s_mov_b64 s[36:37], 0
	v_mov_b32_e32 v13, s31
	v_mov_b32_e32 v14, s21
	;; [unrolled: 1-line block ×4, first 2 shown]
	v_pk_mov_b32 v[6:7], v[4:5], v[4:5] op_sel:[0,1]
	v_pk_mov_b32 v[4:5], v[2:3], v[2:3] op_sel:[0,1]
	;; [unrolled: 1-line block ×3, first 2 shown]
.LBB0_11:                               ; =>This Inner Loop Header: Depth=1
	v_lshlrev_b32_e32 v39, 1, v2
	v_add_co_u32_e32 v18, vcc, s30, v39
	v_lshlrev_b32_e32 v38, 1, v3
	v_addc_co_u32_e32 v19, vcc, 0, v13, vcc
	v_add_co_u32_e32 v20, vcc, s30, v38
	v_lshlrev_b32_e32 v37, 1, v4
	v_addc_co_u32_e32 v21, vcc, 0, v13, vcc
	;; [unrolled: 3-line block ×7, first 2 shown]
	v_add_co_u32_e32 v32, vcc, s30, v1
	v_addc_co_u32_e32 v33, vcc, 0, v13, vcc
	v_or_b32_e32 v39, 1, v39
	global_load_sbyte v40, v[32:33], off
	global_load_sbyte v41, v[30:31], off
	;; [unrolled: 1-line block ×8, first 2 shown]
	v_add_co_u32_e32 v18, vcc, s30, v39
	v_or_b32_e32 v38, 1, v38
	v_addc_co_u32_e32 v19, vcc, 0, v13, vcc
	v_add_co_u32_e32 v20, vcc, s30, v38
	v_or_b32_e32 v37, 1, v37
	v_addc_co_u32_e32 v21, vcc, 0, v13, vcc
	;; [unrolled: 3-line block ×7, first 2 shown]
	v_add_co_u32_e32 v32, vcc, s30, v1
	v_addc_co_u32_e32 v33, vcc, 0, v13, vcc
	global_load_sbyte v1, v[32:33], off
	global_load_sbyte v17, v[30:31], off
	;; [unrolled: 1-line block ×8, first 2 shown]
	v_add_u32_e32 v16, -8, v16
	v_add_u32_e32 v9, 8, v9
	v_add_u32_e32 v8, 8, v8
	;; [unrolled: 1-line block ×8, first 2 shown]
	s_waitcnt vmcnt(15)
	v_bfe_i32 v19, v40, 0, 16
	s_waitcnt vmcnt(14)
	v_bfe_i32 v21, v41, 0, 16
	s_waitcnt vmcnt(13)
	v_bfe_i32 v23, v42, 0, 16
	s_waitcnt vmcnt(12)
	v_bfe_i32 v24, v43, 0, 16
	s_waitcnt vmcnt(11)
	v_bfe_i32 v22, v44, 0, 16
	s_waitcnt vmcnt(10)
	v_bfe_i32 v20, v45, 0, 16
	s_waitcnt vmcnt(9)
	v_bfe_i32 v18, v46, 0, 16
	s_waitcnt vmcnt(8)
	v_bfe_i32 v25, v47, 0, 16
	v_ashrrev_i32_e32 v31, 31, v19
	v_ashrrev_i32_e32 v29, 31, v21
	;; [unrolled: 1-line block ×7, first 2 shown]
	v_add_co_u32_e32 v18, vcc, s20, v18
	v_add_co_u32_e64 v20, s[6:7], s20, v20
	v_add_co_u32_e64 v22, s[8:9], s20, v22
	;; [unrolled: 1-line block ×6, first 2 shown]
	v_ashrrev_i32_e32 v33, 31, v25
	v_add_co_u32_e64 v32, s[18:19], s20, v25
	v_addc_co_u32_e32 v19, vcc, v14, v43, vcc
	v_addc_co_u32_e64 v21, vcc, v14, v42, s[6:7]
	v_addc_co_u32_e64 v23, vcc, v14, v41, s[8:9]
	;; [unrolled: 1-line block ×4, first 2 shown]
	s_waitcnt vmcnt(5)
	v_bfe_i32 v44, v34, 0, 16
	v_addc_co_u32_e64 v29, vcc, v14, v29, s[14:15]
	v_addc_co_u32_e64 v31, vcc, v14, v31, s[16:17]
	s_waitcnt vmcnt(0)
	v_bfe_i32 v34, v39, 0, 16
	v_bfe_i32 v1, v1, 0, 16
	;; [unrolled: 1-line block ×7, first 2 shown]
	v_addc_co_u32_e64 v33, s[18:19], v14, v33, s[18:19]
	v_ashrrev_i32_e32 v50, 31, v44
	v_ashrrev_i32_e32 v52, 31, v34
	v_add_co_u32_e32 v34, vcc, s20, v34
	v_add_co_u32_e64 v44, s[14:15], s20, v44
	v_ashrrev_i32_e32 v49, 31, v1
	v_ashrrev_i32_e32 v47, 31, v17
	;; [unrolled: 1-line block ×6, first 2 shown]
	v_add_co_u32_e64 v36, s[6:7], s20, v36
	v_add_co_u32_e64 v38, s[8:9], s20, v37
	;; [unrolled: 1-line block ×6, first 2 shown]
	global_load_ubyte v1, v[32:33], off
	global_load_ubyte v17, v[18:19], off
	;; [unrolled: 1-line block ×8, first 2 shown]
	v_addc_co_u32_e32 v35, vcc, v14, v52, vcc
	v_addc_co_u32_e64 v45, vcc, v14, v50, s[14:15]
	v_addc_co_u32_e64 v37, vcc, v14, v51, s[6:7]
	;; [unrolled: 1-line block ×7, first 2 shown]
	global_load_ubyte v18, v[44:45], off
	global_load_ubyte v19, v[48:49], off
	;; [unrolled: 1-line block ×8, first 2 shown]
	v_cmp_eq_u32_e32 vcc, 0, v16
	s_or_b64 s[36:37], vcc, s[36:37]
	s_waitcnt vmcnt(15)
	v_lshlrev_b16_e32 v1, 4, v1
	s_waitcnt vmcnt(14)
	v_lshlrev_b16_e32 v17, 12, v17
	;; [unrolled: 2-line block ×8, first 2 shown]
	v_and_b32_e32 v26, 0xf0, v26
	v_and_b32_e32 v1, 0xf0, v1
	;; [unrolled: 1-line block ×4, first 2 shown]
	s_waitcnt vmcnt(7)
	v_lshlrev_b16_e32 v18, 8, v18
	s_waitcnt vmcnt(6)
	v_lshlrev_b16_e32 v19, 8, v19
	;; [unrolled: 2-line block ×4, first 2 shown]
	v_or_b32_e32 v18, v29, v18
	s_waitcnt vmcnt(3)
	v_or_b32_e32 v22, v22, v28
	v_or_b32_e32 v19, v30, v19
	s_waitcnt vmcnt(2)
	v_or_b32_e32 v23, v23, v27
	;; [unrolled: 3-line block ×4, first 2 shown]
	v_or_b32_e32 v18, v22, v18
	v_or_b32_sdwa v19, v23, v19 dst_sel:WORD_1 dst_unused:UNUSED_PAD src0_sel:DWORD src1_sel:DWORD
	v_or_b32_e32 v1, v1, v17
	v_or_b32_sdwa v17, v21, v20 dst_sel:WORD_1 dst_unused:UNUSED_PAD src0_sel:DWORD src1_sel:DWORD
	v_or_b32_sdwa v19, v18, v19 dst_sel:DWORD dst_unused:UNUSED_PAD src0_sel:WORD_0 src1_sel:DWORD
	v_or_b32_sdwa v18, v1, v17 dst_sel:DWORD dst_unused:UNUSED_PAD src0_sel:WORD_0 src1_sel:DWORD
	global_store_dwordx2 v15, v[18:19], s[28:29]
	v_add_u32_e32 v15, 8, v15
	s_andn2_b64 exec, exec, s[36:37]
	s_cbranch_execnz .LBB0_11
; %bb.12:
	s_or_b64 exec, exec, s[36:37]
	v_cmp_ne_u32_e32 vcc, v11, v12
	v_add_u32_e32 v2, v0, v12
	s_orn2_b64 s[6:7], vcc, exec
.LBB0_13:
	s_or_b64 exec, exec, s[34:35]
	s_and_b64 exec, exec, s[6:7]
	s_cbranch_execz .LBB0_16
; %bb.14:
	v_lshlrev_b32_e32 v3, 1, v2
	v_mov_b32_e32 v4, s31
	v_add_co_u32_e32 v3, vcc, s30, v3
	v_addc_co_u32_e32 v5, vcc, 0, v4, vcc
	s_mov_b32 s9, 0
	v_add_co_u32_e32 v4, vcc, 1, v3
	v_mov_b32_e32 v1, 0
	v_addc_co_u32_e32 v5, vcc, 0, v5, vcc
	s_lshl_b32 s8, s33, 1
	s_mov_b64 s[6:7], 0
	v_mov_b32_e32 v3, s21
	v_mov_b32_e32 v6, s29
	;; [unrolled: 1-line block ×4, first 2 shown]
.LBB0_15:                               ; =>This Inner Loop Header: Depth=1
	global_load_ushort v9, v[4:5], off offset:-1
	s_waitcnt vmcnt(0)
	v_lshrrev_b16_e32 v11, 8, v9
	v_bfe_i32 v9, v9, 0, 8
	v_ashrrev_i32_e32 v13, 31, v9
	v_add_co_u32_e32 v12, vcc, s20, v9
	v_bfe_i32 v11, v11, 0, 8
	v_addc_co_u32_e32 v13, vcc, v3, v13, vcc
	v_ashrrev_i32_e32 v9, 31, v11
	v_add_co_u32_e32 v14, vcc, s20, v11
	v_addc_co_u32_e32 v15, vcc, v3, v9, vcc
	global_load_ubyte v9, v[12:13], off
	global_load_ubyte v11, v[14:15], off
	v_add_co_u32_e32 v12, vcc, s28, v2
	v_addc_co_u32_e32 v13, vcc, v6, v1, vcc
	v_add_co_u32_e32 v2, vcc, s33, v2
	v_addc_co_u32_e32 v1, vcc, v1, v7, vcc
	;; [unrolled: 2-line block ×3, first 2 shown]
	v_cmp_le_i32_e32 vcc, s27, v2
	s_or_b64 s[6:7], vcc, s[6:7]
	s_waitcnt vmcnt(1)
	v_lshlrev_b16_e32 v9, 4, v9
	s_waitcnt vmcnt(0)
	v_or_b32_e32 v9, v11, v9
	global_store_byte v[12:13], v9, off
	s_andn2_b64 exec, exec, s[6:7]
	s_cbranch_execnz .LBB0_15
.LBB0_16:
	s_or_b64 exec, exec, s[24:25]
	s_lshr_b32 s6, s26, 31
	s_add_i32 s6, s26, s6
	s_ashr_i32 s24, s6, 1
	v_cmp_gt_i32_e32 vcc, s24, v0
	s_and_saveexec_b64 s[30:31], vcc
	s_cbranch_execz .LBB0_24
; %bb.17:
	s_load_dword s8, s[4:5], 0x5c
	s_load_dwordx2 s[36:37], s[4:5], 0x10
	s_load_dwordx2 s[34:35], s[4:5], 0x30
	s_waitcnt lgkmcnt(0)
	s_and_b32 s25, s8, 0xffff
	v_cvt_f32_u32_e32 v1, s25
	v_add_u32_e32 v2, s25, v0
	v_mov_b32_e32 v3, s25
	s_sub_i32 s9, 0, s25
	v_rcp_iflag_f32_e32 v1, v1
	v_cmp_gt_i32_e32 vcc, s24, v2
	v_max_i32_e32 v4, s24, v2
	v_addc_co_u32_e64 v2, s[6:7], v0, v3, vcc
	v_mul_f32_e32 v1, 0x4f7ffffe, v1
	v_cvt_u32_f32_e32 v1, v1
	v_sub_u32_e32 v2, v4, v2
	v_mul_lo_u32 v3, s9, v1
	v_mul_hi_u32 v3, v1, v3
	v_add_u32_e32 v1, v1, v3
	v_mul_hi_u32 v1, v2, v1
	v_mul_lo_u32 v3, v1, s25
	v_sub_u32_e32 v2, v2, v3
	v_add_u32_e32 v4, 1, v1
	v_cmp_le_u32_e64 s[6:7], s25, v2
	v_subrev_u32_e32 v3, s25, v2
	v_cndmask_b32_e64 v1, v1, v4, s[6:7]
	v_cndmask_b32_e64 v2, v2, v3, s[6:7]
	v_add_u32_e32 v3, 1, v1
	v_cmp_le_u32_e64 s[6:7], s25, v2
	v_cndmask_b32_e64 v1, v1, v3, s[6:7]
	v_addc_co_u32_e32 v11, vcc, 1, v1, vcc
	v_cmp_lt_u32_e32 vcc, 7, v11
	v_cmp_eq_u16_e64 s[6:7], s8, 1
	s_and_b64 s[8:9], vcc, s[6:7]
	s_mov_b64 s[6:7], -1
	s_and_saveexec_b64 s[38:39], s[8:9]
	s_cbranch_execz .LBB0_21
; %bb.18:
	v_add_u32_e32 v7, 7, v0
	v_add_u32_e32 v6, 6, v0
	;; [unrolled: 1-line block ×6, first 2 shown]
	v_and_b32_e32 v12, -8, v11
	v_add_u32_e32 v1, 1, v0
	v_pk_mov_b32 v[8:9], v[6:7], v[6:7] op_sel:[0,1]
	s_mov_b64 s[40:41], 0
	v_mov_b32_e32 v13, s37
	v_mov_b32_e32 v14, s21
	v_mov_b32_e32 v15, v12
	v_pk_mov_b32 v[6:7], v[4:5], v[4:5] op_sel:[0,1]
	v_pk_mov_b32 v[4:5], v[2:3], v[2:3] op_sel:[0,1]
	;; [unrolled: 1-line block ×3, first 2 shown]
.LBB0_19:                               ; =>This Inner Loop Header: Depth=1
	v_lshlrev_b32_e32 v38, 1, v2
	v_add_co_u32_e32 v16, vcc, s36, v38
	v_lshlrev_b32_e32 v37, 1, v3
	v_addc_co_u32_e32 v17, vcc, 0, v13, vcc
	v_add_co_u32_e32 v18, vcc, s36, v37
	v_lshlrev_b32_e32 v36, 1, v4
	v_addc_co_u32_e32 v19, vcc, 0, v13, vcc
	;; [unrolled: 3-line block ×7, first 2 shown]
	v_add_co_u32_e32 v30, vcc, s36, v1
	v_addc_co_u32_e32 v31, vcc, 0, v13, vcc
	v_or_b32_e32 v38, 1, v38
	global_load_sbyte v39, v[30:31], off
	global_load_sbyte v40, v[28:29], off
	;; [unrolled: 1-line block ×8, first 2 shown]
	v_add_co_u32_e32 v16, vcc, s36, v38
	v_or_b32_e32 v37, 1, v37
	v_addc_co_u32_e32 v17, vcc, 0, v13, vcc
	v_add_co_u32_e32 v18, vcc, s36, v37
	v_or_b32_e32 v36, 1, v36
	v_addc_co_u32_e32 v19, vcc, 0, v13, vcc
	;; [unrolled: 3-line block ×7, first 2 shown]
	v_add_co_u32_e32 v30, vcc, s36, v1
	v_addc_co_u32_e32 v31, vcc, 0, v13, vcc
	global_load_sbyte v1, v[30:31], off
	global_load_sbyte v32, v[28:29], off
	;; [unrolled: 1-line block ×8, first 2 shown]
	v_add_u32_e32 v15, -8, v15
	v_add_u32_e32 v9, 8, v9
	v_add_u32_e32 v8, 8, v8
	;; [unrolled: 1-line block ×8, first 2 shown]
	s_waitcnt vmcnt(15)
	v_bfe_i32 v17, v39, 0, 16
	s_waitcnt vmcnt(14)
	v_bfe_i32 v19, v40, 0, 16
	;; [unrolled: 2-line block ×8, first 2 shown]
	v_ashrrev_i32_e32 v29, 31, v17
	v_ashrrev_i32_e32 v27, 31, v19
	;; [unrolled: 1-line block ×7, first 2 shown]
	v_add_co_u32_e32 v16, vcc, s20, v16
	v_add_co_u32_e64 v18, s[6:7], s20, v18
	v_add_co_u32_e64 v20, s[8:9], s20, v20
	;; [unrolled: 1-line block ×6, first 2 shown]
	v_ashrrev_i32_e32 v31, 31, v23
	v_add_co_u32_e64 v30, s[18:19], s20, v23
	v_addc_co_u32_e32 v17, vcc, v14, v42, vcc
	v_addc_co_u32_e64 v19, vcc, v14, v41, s[6:7]
	v_addc_co_u32_e64 v21, vcc, v14, v40, s[8:9]
	;; [unrolled: 1-line block ×4, first 2 shown]
	s_waitcnt vmcnt(6)
	v_bfe_i32 v43, v32, 0, 16
	s_waitcnt vmcnt(5)
	v_bfe_i32 v33, v33, 0, 16
	v_addc_co_u32_e64 v27, vcc, v14, v27, s[14:15]
	v_addc_co_u32_e64 v29, vcc, v14, v29, s[16:17]
	s_waitcnt vmcnt(0)
	v_bfe_i32 v32, v38, 0, 16
	v_bfe_i32 v1, v1, 0, 16
	;; [unrolled: 1-line block ×6, first 2 shown]
	v_addc_co_u32_e64 v31, s[18:19], v14, v31, s[18:19]
	v_ashrrev_i32_e32 v48, 31, v33
	v_ashrrev_i32_e32 v50, 31, v32
	v_add_co_u32_e32 v32, vcc, s20, v32
	v_add_co_u32_e64 v42, s[14:15], s20, v33
	v_ashrrev_i32_e32 v47, 31, v1
	v_ashrrev_i32_e32 v45, 31, v43
	;; [unrolled: 1-line block ×6, first 2 shown]
	v_add_co_u32_e64 v34, s[6:7], s20, v34
	v_add_co_u32_e64 v36, s[8:9], s20, v36
	;; [unrolled: 1-line block ×6, first 2 shown]
	global_load_ubyte v1, v[30:31], off
	global_load_ubyte v51, v[16:17], off
	;; [unrolled: 1-line block ×8, first 2 shown]
	v_addc_co_u32_e32 v33, vcc, v14, v50, vcc
	v_addc_co_u32_e64 v43, vcc, v14, v48, s[14:15]
	v_addc_co_u32_e64 v35, vcc, v14, v49, s[6:7]
	;; [unrolled: 1-line block ×7, first 2 shown]
	global_load_ubyte v16, v[42:43], off
	global_load_ubyte v17, v[46:47], off
	;; [unrolled: 1-line block ×8, first 2 shown]
	v_cmp_eq_u32_e32 vcc, 0, v15
	s_or_b64 s[40:41], vcc, s[40:41]
	s_waitcnt vmcnt(15)
	v_lshlrev_b16_e32 v1, 4, v1
	s_waitcnt vmcnt(14)
	v_lshlrev_b16_e32 v29, 12, v51
	;; [unrolled: 2-line block ×8, first 2 shown]
	v_and_b32_e32 v24, 0xf0, v24
	v_and_b32_e32 v1, 0xf0, v1
	;; [unrolled: 1-line block ×4, first 2 shown]
	s_waitcnt vmcnt(7)
	v_lshlrev_b16_e32 v16, 8, v16
	s_waitcnt vmcnt(6)
	v_lshlrev_b16_e32 v17, 8, v17
	s_waitcnt vmcnt(5)
	v_lshlrev_b16_e32 v18, 8, v18
	s_waitcnt vmcnt(4)
	v_lshlrev_b16_e32 v19, 8, v19
	v_or_b32_e32 v16, v27, v16
	s_waitcnt vmcnt(3)
	v_or_b32_e32 v20, v20, v26
	v_or_b32_e32 v17, v28, v17
	s_waitcnt vmcnt(2)
	v_or_b32_e32 v21, v21, v25
	;; [unrolled: 3-line block ×4, first 2 shown]
	v_or_b32_e32 v16, v20, v16
	v_or_b32_sdwa v17, v21, v17 dst_sel:WORD_1 dst_unused:UNUSED_PAD src0_sel:DWORD src1_sel:DWORD
	v_or_b32_e32 v1, v1, v18
	v_or_b32_sdwa v18, v22, v19 dst_sel:WORD_1 dst_unused:UNUSED_PAD src0_sel:DWORD src1_sel:DWORD
	v_or_b32_sdwa v17, v16, v17 dst_sel:DWORD dst_unused:UNUSED_PAD src0_sel:WORD_0 src1_sel:DWORD
	v_or_b32_sdwa v16, v1, v18 dst_sel:DWORD dst_unused:UNUSED_PAD src0_sel:WORD_0 src1_sel:DWORD
	global_store_dwordx2 v10, v[16:17], s[34:35]
	v_add_u32_e32 v10, 8, v10
	s_andn2_b64 exec, exec, s[40:41]
	s_cbranch_execnz .LBB0_19
; %bb.20:
	s_or_b64 exec, exec, s[40:41]
	v_cmp_ne_u32_e32 vcc, v11, v12
	v_add_u32_e32 v10, v0, v12
	s_orn2_b64 s[6:7], vcc, exec
.LBB0_21:
	s_or_b64 exec, exec, s[38:39]
	s_and_b64 exec, exec, s[6:7]
	s_cbranch_execz .LBB0_24
; %bb.22:
	v_lshlrev_b32_e32 v2, 1, v10
	v_mov_b32_e32 v3, s37
	v_add_co_u32_e32 v2, vcc, s36, v2
	v_addc_co_u32_e32 v3, vcc, 0, v3, vcc
	s_mov_b32 s9, 0
	v_add_co_u32_e32 v2, vcc, 1, v2
	v_mov_b32_e32 v1, 0
	v_addc_co_u32_e32 v3, vcc, 0, v3, vcc
	s_lshl_b32 s8, s25, 1
	s_mov_b64 s[6:7], 0
	v_mov_b32_e32 v4, s21
	v_mov_b32_e32 v5, s35
	;; [unrolled: 1-line block ×4, first 2 shown]
.LBB0_23:                               ; =>This Inner Loop Header: Depth=1
	global_load_ushort v8, v[2:3], off offset:-1
	s_waitcnt vmcnt(0)
	v_lshrrev_b16_e32 v9, 8, v8
	v_bfe_i32 v8, v8, 0, 8
	v_ashrrev_i32_e32 v11, 31, v8
	v_add_co_u32_e32 v8, vcc, s20, v8
	v_bfe_i32 v12, v9, 0, 8
	v_addc_co_u32_e32 v9, vcc, v4, v11, vcc
	v_ashrrev_i32_e32 v11, 31, v12
	v_add_co_u32_e32 v12, vcc, s20, v12
	v_addc_co_u32_e32 v13, vcc, v4, v11, vcc
	global_load_ubyte v11, v[8:9], off
	global_load_ubyte v14, v[12:13], off
	v_add_co_u32_e32 v8, vcc, s34, v10
	v_addc_co_u32_e32 v9, vcc, v5, v1, vcc
	v_add_co_u32_e32 v10, vcc, s25, v10
	v_addc_co_u32_e32 v1, vcc, v1, v6, vcc
	;; [unrolled: 2-line block ×3, first 2 shown]
	v_cmp_le_i32_e32 vcc, s24, v10
	s_or_b64 s[6:7], vcc, s[6:7]
	s_waitcnt vmcnt(1)
	v_lshlrev_b16_e32 v11, 4, v11
	s_waitcnt vmcnt(0)
	v_or_b32_e32 v11, v14, v11
	global_store_byte v[8:9], v11, off
	s_andn2_b64 exec, exec, s[6:7]
	s_cbranch_execnz .LBB0_23
.LBB0_24:
	s_or_b64 exec, exec, s[30:31]
	v_cmp_eq_u32_e32 vcc, 0, v0
	s_and_saveexec_b64 s[6:7], vcc
	s_cbranch_execz .LBB0_30
; %bb.25:
	s_add_i32 s6, s26, 1
	s_cmp_lt_u32 s6, 3
	s_cbranch_scc1 .LBB0_30
; %bb.26:
	v_mov_b32_e32 v0, 0
	global_load_ushort v1, v0, s[22:23] offset:2
	global_load_ushort v2, v0, s[22:23] offset:6
	;; [unrolled: 1-line block ×11, first 2 shown]
	global_load_ushort v12, v0, s[22:23]
	global_load_ushort v13, v0, s[22:23] offset:8
	global_load_ushort v14, v0, s[22:23] offset:12
	;; [unrolled: 1-line block ×6, first 2 shown]
	global_load_ushort v19, v0, s[28:29]
	global_load_ushort v20, v0, s[28:29] offset:4
	s_load_dwordx2 s[4:5], s[4:5], 0x38
	s_movk_i32 s8, 0xff
	s_ashr_i32 s25, s24, 31
	s_mov_b32 s9, 0
	s_mov_b64 s[6:7], 64
	s_waitcnt vmcnt(19)
	v_lshrrev_b16_e32 v21, 8, v1
	s_waitcnt vmcnt(18)
	v_lshrrev_b16_e32 v22, 8, v2
	v_and_b32_e32 v2, 0xff, v2
	s_waitcnt vmcnt(16)
	v_lshrrev_b16_e32 v24, 8, v4
	v_and_b32_e32 v4, 0xff, v4
	v_lshrrev_b16_e32 v23, 8, v3
	v_and_b32_e32 v3, 0xff, v3
	v_lshlrev_b32_e32 v4, 16, v4
	s_waitcnt vmcnt(11)
	v_lshrrev_b16_e32 v29, 8, v9
	v_and_b32_e32 v9, 0xff, v9
	s_waitcnt vmcnt(9)
	v_lshrrev_b16_e32 v30, 8, v11
	v_and_b32_e32 v11, 0xff, v11
	v_lshlrev_b32_e32 v2, 16, v2
	v_lshlrev_b32_e32 v3, 16, v3
	;; [unrolled: 1-line block ×4, first 2 shown]
	s_waitcnt vmcnt(6)
	v_or_b32_e32 v4, v4, v14
	v_and_b32_e32 v1, 0xff, v1
	v_lshrrev_b16_e32 v25, 8, v5
	v_and_b32_e32 v5, 0xff, v5
	v_lshrrev_b16_e32 v28, 8, v8
	v_and_b32_e32 v8, 0xff, v8
	v_lshlrev_b32_e32 v23, 24, v23
	v_lshlrev_b32_e32 v9, 16, v9
	;; [unrolled: 1-line block ×3, first 2 shown]
	v_or_b32_e32 v2, v2, v10
	v_or_b32_e32 v3, v3, v13
	s_waitcnt vmcnt(0)
	v_or_b32_e32 v10, v11, v20
	v_or_b32_e32 v4, v4, v24
	v_lshrrev_b16_e32 v26, 8, v6
	v_and_b32_e32 v6, 0xff, v6
	v_lshrrev_b16_e32 v27, 8, v7
	v_and_b32_e32 v7, 0xff, v7
	v_lshlrev_b32_e32 v1, 16, v1
	v_lshlrev_b32_e32 v5, 16, v5
	;; [unrolled: 1-line block ×4, first 2 shown]
	v_or_b32_e32 v9, v9, v19
	v_or_b32_e32 v3, v3, v23
	;; [unrolled: 1-line block ×3, first 2 shown]
	v_add_u32_e32 v11, 0x6b206574, v4
	v_lshlrev_b32_e32 v6, 16, v6
	v_lshlrev_b32_e32 v7, 16, v7
	;; [unrolled: 1-line block ×3, first 2 shown]
	v_or_b32_e32 v1, v1, v12
	v_or_b32_e32 v5, v5, v15
	;; [unrolled: 1-line block ×4, first 2 shown]
	v_add_u32_e32 v15, 0x79622d32, v3
	v_xor_b32_e32 v12, v10, v11
	v_lshlrev_b32_e32 v27, 24, v27
	v_or_b32_e32 v6, v6, v16
	v_or_b32_e32 v7, v7, v17
	v_or_b32_e32 v8, v8, v28
	v_alignbit_b32 v12, v12, v12, 16
	v_xor_b32_e32 v16, v9, v15
	v_or_b32_e32 v7, v7, v27
	v_add_u32_e32 v13, v12, v8
	v_alignbit_b32 v18, v16, v16, 16
	v_xor_b32_e32 v14, v13, v4
	v_add_u32_e32 v19, v18, v7
	v_alignbit_b32 v14, v14, v14, 20
	v_xor_b32_e32 v16, v19, v3
	v_lshlrev_b32_e32 v21, 24, v21
	v_add_u32_e32 v11, v14, v11
	v_alignbit_b32 v20, v16, v16, 20
	v_or_b32_e32 v1, v1, v21
	v_xor_b32_e32 v12, v11, v12
	v_add_u32_e32 v21, v20, v15
	v_alignbit_b32 v12, v12, v12, 24
	v_xor_b32_e32 v18, v21, v18
	v_add_u32_e32 v13, v12, v13
	v_alignbit_b32 v18, v18, v18, 24
	v_lshlrev_b32_e32 v22, 24, v22
	v_xor_b32_e32 v14, v13, v14
	v_add_u32_e32 v19, v18, v19
	v_lshlrev_b32_e32 v25, 24, v25
	v_lshlrev_b32_e32 v26, 24, v26
	v_or_b32_e32 v2, v2, v22
	v_alignbit_b32 v14, v14, v14, 25
	v_xor_b32_e32 v20, v19, v20
	v_or_b32_e32 v5, v5, v25
	v_or_b32_e32 v6, v6, v26
	v_add_u32_e32 v15, v14, v21
	v_add_u32_e32 v16, 0x3320646e, v2
	;; [unrolled: 1-line block ×3, first 2 shown]
	v_alignbit_b32 v20, v20, v20, 25
	v_mov_b32_e32 v21, 0
	v_mov_b32_e32 v22, 8
	v_mov_b32_e32 v23, 0
	s_branch .LBB0_28
.LBB0_27:                               ;   in Loop: Header=BB0_28 Depth=1
	v_add_u32_e32 v24, s6, v21
	s_waitcnt lgkmcnt(0)
	global_load_ubyte v25, v0, s[4:5]
	buffer_load_ubyte v26, v24, s[0:3], 0 offen offset:64
	s_add_u32 s6, s6, 1
                                        ; kill: killed $vgpr24
	s_addc_u32 s7, s7, 0
	s_waitcnt vmcnt(0)
	v_xor_b32_e32 v24, v25, v26
	global_store_byte v0, v24, s[4:5]
	s_add_u32 s4, s4, 1
	s_addc_u32 s5, s5, 0
	s_add_u32 s24, s24, -1
	s_addc_u32 s25, s25, -1
	s_cmp_lg_u64 s[24:25], 0
	s_cbranch_scc0 .LBB0_30
.LBB0_28:                               ; =>This Inner Loop Header: Depth=1
	v_cmp_lt_u64_e64 s[10:11], s[6:7], 64
	s_and_b64 vcc, exec, s[10:11]
	s_cbranch_vccnz .LBB0_27
; %bb.29:                               ;   in Loop: Header=BB0_28 Depth=1
	v_xor_b32_e32 v25, s9, v16
	v_alignbit_b32 v25, v25, v25, 16
	v_xor_b32_e32 v30, v23, v17
	v_add_u32_e32 v26, v25, v6
	v_alignbit_b32 v30, v30, v30, 16
	v_xor_b32_e32 v27, v26, v2
	v_add_u32_e32 v31, v30, v5
	;; [unrolled: 3-line block ×4, first 2 shown]
	v_alignbit_b32 v25, v25, v25, 24
	v_xor_b32_e32 v30, v33, v30
	v_xor_b32_e32 v29, v25, v15
	v_alignbit_b32 v30, v30, v30, 24
	v_alignbit_b32 v29, v29, v29, 16
	v_add_u32_e32 v31, v30, v31
	v_add_u32_e32 v34, v29, v31
	v_xor_b32_e32 v31, v31, v32
	v_alignbit_b32 v31, v31, v31, 25
	v_add_u32_e32 v32, v31, v11
	v_xor_b32_e32 v37, v32, v18
	v_alignbit_b32 v37, v37, v37, 16
	v_add_u32_e32 v25, v25, v26
	v_add_u32_e32 v26, v37, v25
	v_xor_b32_e32 v25, v25, v27
	v_alignbit_b32 v25, v25, v25, 25
	v_xor_b32_e32 v35, v34, v14
	v_add_u32_e32 v27, v25, v33
	v_alignbit_b32 v35, v35, v35, 20
	v_xor_b32_e32 v33, v27, v12
	v_add_u32_e32 v36, v35, v15
	v_alignbit_b32 v33, v33, v33, 16
	v_add_u32_e32 v28, v28, v20
	v_xor_b32_e32 v29, v36, v29
	v_add_u32_e32 v39, v33, v19
	v_xor_b32_e32 v30, v28, v30
	v_alignbit_b32 v29, v29, v29, 24
	v_xor_b32_e32 v25, v39, v25
	v_alignbit_b32 v30, v30, v30, 16
	v_add_u32_e32 v34, v29, v34
	v_xor_b32_e32 v31, v26, v31
	v_alignbit_b32 v25, v25, v25, 20
	v_add_u32_e32 v41, v30, v13
	;; [unrolled: 3-line block ×5, first 2 shown]
	v_alignbit_b32 v33, v33, v33, 24
	v_add_u32_e32 v28, v42, v28
	v_xor_b32_e32 v40, v38, v33
	v_xor_b32_e32 v30, v28, v30
	v_add_u32_e32 v33, v33, v39
	v_alignbit_b32 v30, v30, v30, 24
	v_xor_b32_e32 v25, v33, v25
	v_alignbit_b32 v40, v40, v40, 16
	v_add_u32_e32 v41, v30, v41
	v_alignbit_b32 v25, v25, v25, 25
	v_add_u32_e32 v43, v40, v41
	v_xor_b32_e32 v41, v41, v42
	v_xor_b32_e32 v32, v32, v37
	v_add_u32_e32 v28, v25, v28
	v_alignbit_b32 v41, v41, v41, 25
	v_alignbit_b32 v32, v32, v32, 24
	v_xor_b32_e32 v29, v28, v29
	v_add_u32_e32 v36, v41, v36
	v_alignbit_b32 v29, v29, v29, 16
	v_add_u32_e32 v26, v32, v26
	v_xor_b32_e32 v37, v36, v32
	v_add_u32_e32 v32, v29, v26
	v_xor_b32_e32 v26, v26, v31
	v_alignbit_b32 v26, v26, v26, 25
	v_add_u32_e32 v27, v26, v27
	v_xor_b32_e32 v35, v43, v35
	v_xor_b32_e32 v30, v27, v30
	v_alignbit_b32 v35, v35, v35, 20
	v_alignbit_b32 v30, v30, v30, 16
	v_add_u32_e32 v38, v35, v38
	v_add_u32_e32 v31, v30, v34
	v_xor_b32_e32 v40, v38, v40
	v_alignbit_b32 v37, v37, v37, 16
	v_xor_b32_e32 v26, v31, v26
	v_alignbit_b32 v40, v40, v40, 24
	v_add_u32_e32 v39, v37, v33
	v_xor_b32_e32 v25, v32, v25
	v_alignbit_b32 v26, v26, v26, 20
	v_add_u32_e32 v43, v40, v43
	;; [unrolled: 3-line block ×6, first 2 shown]
	v_alignbit_b32 v29, v29, v29, 24
	v_add_u32_e32 v31, v30, v31
	v_xor_b32_e32 v33, v42, v29
	v_xor_b32_e32 v26, v31, v26
	v_alignbit_b32 v33, v33, v33, 16
	v_alignbit_b32 v26, v26, v26, 25
	v_xor_b32_e32 v36, v36, v37
	v_add_u32_e32 v29, v29, v32
	v_add_u32_e32 v34, v33, v31
	;; [unrolled: 1-line block ×3, first 2 shown]
	v_alignbit_b32 v36, v36, v36, 24
	v_xor_b32_e32 v25, v29, v25
	v_xor_b32_e32 v37, v31, v36
	v_alignbit_b32 v25, v25, v25, 25
	v_alignbit_b32 v37, v37, v37, 16
	v_add_u32_e32 v27, v25, v27
	v_add_u32_e32 v32, v37, v29
	v_xor_b32_e32 v29, v27, v40
	v_alignbit_b32 v29, v29, v29, 16
	v_add_u32_e32 v36, v36, v39
	v_add_u32_e32 v39, v29, v36
	v_xor_b32_e32 v36, v36, v41
	v_alignbit_b32 v36, v36, v36, 25
	v_add_u32_e32 v28, v36, v28
	v_xor_b32_e32 v35, v34, v35
	v_xor_b32_e32 v30, v28, v30
	v_alignbit_b32 v35, v35, v35, 20
	v_alignbit_b32 v30, v30, v30, 16
	v_add_u32_e32 v42, v35, v42
	v_add_u32_e32 v41, v30, v43
	v_xor_b32_e32 v33, v42, v33
	v_xor_b32_e32 v36, v41, v36
	v_alignbit_b32 v33, v33, v33, 24
	v_xor_b32_e32 v25, v39, v25
	v_alignbit_b32 v36, v36, v36, 20
	v_add_u32_e32 v34, v33, v34
	v_xor_b32_e32 v26, v32, v26
	v_alignbit_b32 v25, v25, v25, 20
	v_add_u32_e32 v28, v36, v28
	v_xor_b32_e32 v35, v34, v35
	v_alignbit_b32 v26, v26, v26, 20
	v_add_u32_e32 v27, v25, v27
	v_xor_b32_e32 v30, v28, v30
	v_alignbit_b32 v35, v35, v35, 25
	v_add_u32_e32 v31, v26, v31
	v_xor_b32_e32 v29, v27, v29
	v_alignbit_b32 v30, v30, v30, 24
	v_add_u32_e32 v38, v35, v31
	v_alignbit_b32 v29, v29, v29, 24
	v_add_u32_e32 v41, v30, v41
	v_xor_b32_e32 v40, v38, v29
	v_xor_b32_e32 v36, v41, v36
	v_alignbit_b32 v40, v40, v40, 16
	v_alignbit_b32 v36, v36, v36, 25
	v_xor_b32_e32 v31, v31, v37
	v_add_u32_e32 v43, v40, v41
	v_add_u32_e32 v41, v36, v42
	v_alignbit_b32 v31, v31, v31, 24
	v_xor_b32_e32 v37, v41, v31
	v_add_u32_e32 v29, v29, v39
	v_add_u32_e32 v31, v31, v32
	v_xor_b32_e32 v25, v29, v25
	v_xor_b32_e32 v26, v31, v26
	v_alignbit_b32 v25, v25, v25, 25
	v_alignbit_b32 v26, v26, v26, 25
	v_alignbit_b32 v37, v37, v37, 16
	v_add_u32_e32 v28, v25, v28
	v_add_u32_e32 v27, v26, v27
	v_xor_b32_e32 v35, v43, v35
	v_add_u32_e32 v39, v37, v29
	v_xor_b32_e32 v29, v28, v33
	v_xor_b32_e32 v30, v27, v30
	v_alignbit_b32 v35, v35, v35, 20
	v_alignbit_b32 v29, v29, v29, 16
	v_alignbit_b32 v30, v30, v30, 16
	v_add_u32_e32 v38, v35, v38
	v_add_u32_e32 v32, v29, v31
	v_add_u32_e32 v31, v30, v34
	v_xor_b32_e32 v40, v38, v40
	v_xor_b32_e32 v26, v31, v26
	v_alignbit_b32 v40, v40, v40, 24
	v_xor_b32_e32 v25, v32, v25
	v_alignbit_b32 v26, v26, v26, 20
	v_add_u32_e32 v43, v40, v43
	v_xor_b32_e32 v36, v39, v36
	v_alignbit_b32 v25, v25, v25, 20
	v_add_u32_e32 v27, v26, v27
	v_xor_b32_e32 v35, v43, v35
	v_alignbit_b32 v36, v36, v36, 20
	v_add_u32_e32 v28, v25, v28
	v_xor_b32_e32 v30, v27, v30
	v_alignbit_b32 v35, v35, v35, 25
	v_add_u32_e32 v41, v36, v41
	v_xor_b32_e32 v29, v28, v29
	v_alignbit_b32 v30, v30, v30, 24
	v_add_u32_e32 v42, v35, v41
	v_alignbit_b32 v29, v29, v29, 24
	v_add_u32_e32 v31, v30, v31
	v_xor_b32_e32 v33, v42, v29
	v_xor_b32_e32 v26, v31, v26
	v_alignbit_b32 v33, v33, v33, 16
	v_alignbit_b32 v26, v26, v26, 25
	v_xor_b32_e32 v37, v41, v37
	v_add_u32_e32 v34, v33, v31
	v_add_u32_e32 v31, v26, v38
	v_alignbit_b32 v37, v37, v37, 24
	v_xor_b32_e32 v38, v31, v37
	v_add_u32_e32 v29, v29, v32
	v_add_u32_e32 v37, v37, v39
	v_xor_b32_e32 v25, v29, v25
	v_xor_b32_e32 v36, v37, v36
	v_alignbit_b32 v25, v25, v25, 25
	v_alignbit_b32 v36, v36, v36, 25
	v_alignbit_b32 v38, v38, v38, 16
	v_add_u32_e32 v27, v25, v27
	v_add_u32_e32 v28, v36, v28
	v_xor_b32_e32 v35, v34, v35
	v_add_u32_e32 v32, v38, v29
	v_xor_b32_e32 v29, v27, v40
	v_xor_b32_e32 v30, v28, v30
	v_alignbit_b32 v35, v35, v35, 20
	v_alignbit_b32 v29, v29, v29, 16
	v_alignbit_b32 v30, v30, v30, 16
	v_add_u32_e32 v42, v35, v42
	v_add_u32_e32 v39, v29, v37
	v_add_u32_e32 v37, v30, v43
	v_xor_b32_e32 v33, v42, v33
	v_xor_b32_e32 v36, v37, v36
	v_alignbit_b32 v33, v33, v33, 24
	v_xor_b32_e32 v25, v39, v25
	v_alignbit_b32 v36, v36, v36, 20
	v_add_u32_e32 v34, v33, v34
	v_xor_b32_e32 v26, v32, v26
	v_alignbit_b32 v25, v25, v25, 20
	v_add_u32_e32 v28, v36, v28
	v_xor_b32_e32 v35, v34, v35
	v_alignbit_b32 v26, v26, v26, 20
	v_add_u32_e32 v27, v25, v27
	v_xor_b32_e32 v30, v28, v30
	v_alignbit_b32 v35, v35, v35, 25
	v_add_u32_e32 v31, v26, v31
	v_xor_b32_e32 v29, v27, v29
	v_alignbit_b32 v30, v30, v30, 24
	v_add_u32_e32 v41, v35, v31
	v_alignbit_b32 v29, v29, v29, 24
	v_add_u32_e32 v37, v30, v37
	v_xor_b32_e32 v40, v41, v29
	v_xor_b32_e32 v36, v37, v36
	v_alignbit_b32 v40, v40, v40, 16
	v_alignbit_b32 v36, v36, v36, 25
	v_xor_b32_e32 v31, v31, v38
	v_add_u32_e32 v43, v40, v37
	v_add_u32_e32 v37, v36, v42
	v_alignbit_b32 v31, v31, v31, 24
	v_xor_b32_e32 v38, v37, v31
	v_add_u32_e32 v29, v29, v39
	v_add_u32_e32 v31, v31, v32
	v_xor_b32_e32 v25, v29, v25
	v_xor_b32_e32 v26, v31, v26
	v_alignbit_b32 v25, v25, v25, 25
	v_alignbit_b32 v26, v26, v26, 25
	v_alignbit_b32 v38, v38, v38, 16
	v_add_u32_e32 v28, v25, v28
	v_add_u32_e32 v27, v26, v27
	v_xor_b32_e32 v35, v43, v35
	v_add_u32_e32 v39, v38, v29
	v_xor_b32_e32 v29, v28, v33
	v_xor_b32_e32 v30, v27, v30
	v_alignbit_b32 v35, v35, v35, 20
	v_alignbit_b32 v29, v29, v29, 16
	v_alignbit_b32 v30, v30, v30, 16
	v_add_u32_e32 v41, v35, v41
	v_add_u32_e32 v32, v29, v31
	v_add_u32_e32 v31, v30, v34
	v_xor_b32_e32 v40, v41, v40
	v_xor_b32_e32 v26, v31, v26
	v_alignbit_b32 v40, v40, v40, 24
	v_xor_b32_e32 v25, v32, v25
	v_alignbit_b32 v26, v26, v26, 20
	v_add_u32_e32 v43, v40, v43
	v_xor_b32_e32 v36, v39, v36
	v_alignbit_b32 v25, v25, v25, 20
	v_add_u32_e32 v27, v26, v27
	v_xor_b32_e32 v35, v43, v35
	v_alignbit_b32 v36, v36, v36, 20
	v_add_u32_e32 v28, v25, v28
	v_xor_b32_e32 v30, v27, v30
	v_alignbit_b32 v35, v35, v35, 25
	v_add_u32_e32 v37, v36, v37
	v_xor_b32_e32 v29, v28, v29
	v_alignbit_b32 v30, v30, v30, 24
	v_add_u32_e32 v42, v35, v37
	v_alignbit_b32 v29, v29, v29, 24
	v_add_u32_e32 v31, v30, v31
	v_xor_b32_e32 v33, v42, v29
	v_xor_b32_e32 v26, v31, v26
	v_alignbit_b32 v33, v33, v33, 16
	v_alignbit_b32 v26, v26, v26, 25
	v_xor_b32_e32 v37, v37, v38
	v_add_u32_e32 v34, v33, v31
	v_add_u32_e32 v31, v26, v41
	v_alignbit_b32 v37, v37, v37, 24
	v_xor_b32_e32 v38, v31, v37
	v_add_u32_e32 v29, v29, v32
	v_add_u32_e32 v37, v37, v39
	v_xor_b32_e32 v25, v29, v25
	v_xor_b32_e32 v36, v37, v36
	v_alignbit_b32 v25, v25, v25, 25
	v_alignbit_b32 v36, v36, v36, 25
	v_alignbit_b32 v38, v38, v38, 16
	v_add_u32_e32 v27, v25, v27
	v_add_u32_e32 v28, v36, v28
	v_xor_b32_e32 v35, v34, v35
	v_add_u32_e32 v32, v38, v29
	v_xor_b32_e32 v29, v27, v40
	v_xor_b32_e32 v30, v28, v30
	v_alignbit_b32 v35, v35, v35, 20
	v_alignbit_b32 v29, v29, v29, 16
	v_alignbit_b32 v30, v30, v30, 16
	v_add_u32_e32 v42, v35, v42
	v_add_u32_e32 v39, v29, v37
	v_add_u32_e32 v37, v30, v43
	v_xor_b32_e32 v33, v42, v33
	v_xor_b32_e32 v36, v37, v36
	v_alignbit_b32 v33, v33, v33, 24
	v_xor_b32_e32 v25, v39, v25
	v_alignbit_b32 v36, v36, v36, 20
	v_add_u32_e32 v34, v33, v34
	v_xor_b32_e32 v26, v32, v26
	v_alignbit_b32 v25, v25, v25, 20
	v_add_u32_e32 v28, v36, v28
	v_xor_b32_e32 v35, v34, v35
	v_alignbit_b32 v26, v26, v26, 20
	v_add_u32_e32 v27, v25, v27
	v_xor_b32_e32 v30, v28, v30
	v_alignbit_b32 v35, v35, v35, 25
	v_add_u32_e32 v31, v26, v31
	v_xor_b32_e32 v29, v27, v29
	v_alignbit_b32 v30, v30, v30, 24
	v_add_u32_e32 v41, v35, v31
	v_alignbit_b32 v29, v29, v29, 24
	v_add_u32_e32 v37, v30, v37
	v_xor_b32_e32 v40, v41, v29
	v_xor_b32_e32 v36, v37, v36
	v_alignbit_b32 v40, v40, v40, 16
	v_alignbit_b32 v36, v36, v36, 25
	v_xor_b32_e32 v31, v31, v38
	v_add_u32_e32 v43, v40, v37
	v_add_u32_e32 v37, v36, v42
	v_alignbit_b32 v31, v31, v31, 24
	v_xor_b32_e32 v38, v37, v31
	v_add_u32_e32 v29, v29, v39
	v_add_u32_e32 v31, v31, v32
	v_xor_b32_e32 v25, v29, v25
	v_xor_b32_e32 v26, v31, v26
	v_alignbit_b32 v25, v25, v25, 25
	v_alignbit_b32 v26, v26, v26, 25
	v_alignbit_b32 v38, v38, v38, 16
	v_add_u32_e32 v28, v25, v28
	v_add_u32_e32 v27, v26, v27
	v_xor_b32_e32 v35, v43, v35
	v_add_u32_e32 v39, v38, v29
	v_xor_b32_e32 v29, v28, v33
	v_xor_b32_e32 v30, v27, v30
	v_alignbit_b32 v35, v35, v35, 20
	v_alignbit_b32 v29, v29, v29, 16
	v_alignbit_b32 v30, v30, v30, 16
	v_add_u32_e32 v41, v35, v41
	v_add_u32_e32 v32, v29, v31
	v_add_u32_e32 v31, v30, v34
	v_xor_b32_e32 v40, v41, v40
	v_xor_b32_e32 v26, v31, v26
	v_alignbit_b32 v40, v40, v40, 24
	v_xor_b32_e32 v25, v32, v25
	v_alignbit_b32 v26, v26, v26, 20
	v_add_u32_e32 v43, v40, v43
	v_xor_b32_e32 v36, v39, v36
	v_alignbit_b32 v25, v25, v25, 20
	v_add_u32_e32 v27, v26, v27
	v_xor_b32_e32 v35, v43, v35
	v_alignbit_b32 v36, v36, v36, 20
	v_add_u32_e32 v28, v25, v28
	v_xor_b32_e32 v30, v27, v30
	v_alignbit_b32 v35, v35, v35, 25
	v_add_u32_e32 v37, v36, v37
	v_xor_b32_e32 v29, v28, v29
	v_alignbit_b32 v30, v30, v30, 24
	v_add_u32_e32 v42, v35, v37
	v_alignbit_b32 v29, v29, v29, 24
	v_add_u32_e32 v31, v30, v31
	v_xor_b32_e32 v33, v42, v29
	v_xor_b32_e32 v26, v31, v26
	v_alignbit_b32 v33, v33, v33, 16
	v_alignbit_b32 v26, v26, v26, 25
	v_xor_b32_e32 v37, v37, v38
	v_add_u32_e32 v34, v33, v31
	v_add_u32_e32 v31, v26, v41
	v_alignbit_b32 v37, v37, v37, 24
	v_xor_b32_e32 v38, v31, v37
	v_add_u32_e32 v29, v29, v32
	v_add_u32_e32 v37, v37, v39
	v_xor_b32_e32 v25, v29, v25
	v_xor_b32_e32 v36, v37, v36
	v_alignbit_b32 v25, v25, v25, 25
	v_alignbit_b32 v36, v36, v36, 25
	v_alignbit_b32 v38, v38, v38, 16
	v_add_u32_e32 v27, v25, v27
	v_add_u32_e32 v28, v36, v28
	v_xor_b32_e32 v35, v34, v35
	v_add_u32_e32 v32, v38, v29
	v_xor_b32_e32 v29, v27, v40
	v_xor_b32_e32 v30, v28, v30
	v_alignbit_b32 v35, v35, v35, 20
	v_alignbit_b32 v29, v29, v29, 16
	v_alignbit_b32 v30, v30, v30, 16
	v_add_u32_e32 v42, v35, v42
	v_add_u32_e32 v39, v29, v37
	v_add_u32_e32 v37, v30, v43
	v_xor_b32_e32 v33, v42, v33
	v_xor_b32_e32 v36, v37, v36
	v_alignbit_b32 v33, v33, v33, 24
	v_xor_b32_e32 v25, v39, v25
	v_alignbit_b32 v36, v36, v36, 20
	v_add_u32_e32 v34, v33, v34
	v_xor_b32_e32 v26, v32, v26
	v_alignbit_b32 v25, v25, v25, 20
	v_add_u32_e32 v28, v36, v28
	v_xor_b32_e32 v35, v34, v35
	v_alignbit_b32 v26, v26, v26, 20
	v_add_u32_e32 v27, v25, v27
	v_xor_b32_e32 v30, v28, v30
	v_alignbit_b32 v35, v35, v35, 25
	v_add_u32_e32 v31, v26, v31
	v_xor_b32_e32 v29, v27, v29
	v_alignbit_b32 v30, v30, v30, 24
	v_add_u32_e32 v41, v35, v31
	v_alignbit_b32 v29, v29, v29, 24
	v_add_u32_e32 v37, v30, v37
	v_xor_b32_e32 v40, v41, v29
	v_xor_b32_e32 v36, v37, v36
	v_alignbit_b32 v40, v40, v40, 16
	v_alignbit_b32 v36, v36, v36, 25
	v_xor_b32_e32 v31, v31, v38
	v_add_u32_e32 v43, v40, v37
	v_add_u32_e32 v37, v36, v42
	v_alignbit_b32 v31, v31, v31, 24
	v_xor_b32_e32 v38, v37, v31
	v_add_u32_e32 v29, v29, v39
	v_add_u32_e32 v31, v31, v32
	v_xor_b32_e32 v25, v29, v25
	v_xor_b32_e32 v26, v31, v26
	v_alignbit_b32 v25, v25, v25, 25
	v_alignbit_b32 v26, v26, v26, 25
	v_alignbit_b32 v38, v38, v38, 16
	v_add_u32_e32 v28, v25, v28
	v_add_u32_e32 v27, v26, v27
	v_xor_b32_e32 v35, v43, v35
	v_add_u32_e32 v39, v38, v29
	v_xor_b32_e32 v29, v28, v33
	v_xor_b32_e32 v30, v27, v30
	v_alignbit_b32 v35, v35, v35, 20
	v_alignbit_b32 v29, v29, v29, 16
	v_alignbit_b32 v30, v30, v30, 16
	v_add_u32_e32 v41, v35, v41
	v_add_u32_e32 v32, v29, v31
	v_add_u32_e32 v31, v30, v34
	v_xor_b32_e32 v40, v41, v40
	v_xor_b32_e32 v26, v31, v26
	v_alignbit_b32 v40, v40, v40, 24
	v_xor_b32_e32 v25, v32, v25
	v_alignbit_b32 v26, v26, v26, 20
	v_add_u32_e32 v43, v40, v43
	v_xor_b32_e32 v36, v39, v36
	v_alignbit_b32 v25, v25, v25, 20
	v_add_u32_e32 v27, v26, v27
	v_xor_b32_e32 v35, v43, v35
	v_alignbit_b32 v36, v36, v36, 20
	v_add_u32_e32 v28, v25, v28
	v_xor_b32_e32 v30, v27, v30
	v_alignbit_b32 v35, v35, v35, 25
	v_add_u32_e32 v37, v36, v37
	v_xor_b32_e32 v29, v28, v29
	v_alignbit_b32 v30, v30, v30, 24
	v_add_u32_e32 v42, v35, v37
	v_alignbit_b32 v29, v29, v29, 24
	v_add_u32_e32 v31, v30, v31
	v_xor_b32_e32 v33, v42, v29
	v_xor_b32_e32 v26, v31, v26
	v_alignbit_b32 v33, v33, v33, 16
	v_alignbit_b32 v26, v26, v26, 25
	v_xor_b32_e32 v37, v37, v38
	v_add_u32_e32 v34, v33, v31
	v_add_u32_e32 v31, v26, v41
	v_alignbit_b32 v37, v37, v37, 24
	v_xor_b32_e32 v38, v31, v37
	v_add_u32_e32 v29, v29, v32
	v_add_u32_e32 v37, v37, v39
	v_xor_b32_e32 v25, v29, v25
	v_xor_b32_e32 v36, v37, v36
	v_alignbit_b32 v25, v25, v25, 25
	v_alignbit_b32 v36, v36, v36, 25
	v_alignbit_b32 v38, v38, v38, 16
	v_add_u32_e32 v27, v25, v27
	v_add_u32_e32 v28, v36, v28
	v_xor_b32_e32 v35, v34, v35
	v_add_u32_e32 v32, v38, v29
	v_xor_b32_e32 v29, v27, v40
	v_xor_b32_e32 v30, v28, v30
	v_alignbit_b32 v35, v35, v35, 20
	v_alignbit_b32 v29, v29, v29, 16
	v_alignbit_b32 v30, v30, v30, 16
	v_add_u32_e32 v42, v35, v42
	v_add_u32_e32 v39, v29, v37
	v_add_u32_e32 v37, v30, v43
	v_xor_b32_e32 v33, v42, v33
	v_xor_b32_e32 v36, v37, v36
	v_alignbit_b32 v33, v33, v33, 24
	v_xor_b32_e32 v25, v39, v25
	v_alignbit_b32 v36, v36, v36, 20
	v_add_u32_e32 v34, v33, v34
	v_xor_b32_e32 v26, v32, v26
	v_alignbit_b32 v25, v25, v25, 20
	v_add_u32_e32 v28, v36, v28
	v_xor_b32_e32 v35, v34, v35
	v_alignbit_b32 v26, v26, v26, 20
	v_add_u32_e32 v27, v25, v27
	v_xor_b32_e32 v30, v28, v30
	v_alignbit_b32 v35, v35, v35, 25
	v_add_u32_e32 v31, v26, v31
	v_xor_b32_e32 v29, v27, v29
	v_alignbit_b32 v30, v30, v30, 24
	v_add_u32_e32 v41, v35, v31
	v_alignbit_b32 v29, v29, v29, 24
	v_add_u32_e32 v37, v30, v37
	v_xor_b32_e32 v40, v41, v29
	v_xor_b32_e32 v36, v37, v36
	v_alignbit_b32 v40, v40, v40, 16
	v_alignbit_b32 v36, v36, v36, 25
	v_xor_b32_e32 v31, v31, v38
	v_add_u32_e32 v43, v40, v37
	v_add_u32_e32 v37, v36, v42
	v_alignbit_b32 v31, v31, v31, 24
	v_xor_b32_e32 v38, v37, v31
	v_add_u32_e32 v29, v29, v39
	v_add_u32_e32 v31, v31, v32
	v_xor_b32_e32 v25, v29, v25
	v_xor_b32_e32 v26, v31, v26
	v_alignbit_b32 v25, v25, v25, 25
	v_alignbit_b32 v26, v26, v26, 25
	v_alignbit_b32 v38, v38, v38, 16
	v_add_u32_e32 v28, v25, v28
	v_add_u32_e32 v27, v26, v27
	v_xor_b32_e32 v35, v43, v35
	v_add_u32_e32 v39, v38, v29
	v_xor_b32_e32 v29, v28, v33
	v_xor_b32_e32 v30, v27, v30
	v_alignbit_b32 v35, v35, v35, 20
	v_alignbit_b32 v29, v29, v29, 16
	v_alignbit_b32 v30, v30, v30, 16
	v_add_u32_e32 v41, v35, v41
	v_add_u32_e32 v32, v29, v31
	v_add_u32_e32 v31, v30, v34
	v_xor_b32_e32 v40, v41, v40
	v_xor_b32_e32 v26, v31, v26
	v_alignbit_b32 v40, v40, v40, 24
	v_xor_b32_e32 v25, v32, v25
	v_alignbit_b32 v26, v26, v26, 20
	v_add_u32_e32 v43, v40, v43
	v_xor_b32_e32 v36, v39, v36
	v_alignbit_b32 v25, v25, v25, 20
	v_add_u32_e32 v27, v26, v27
	v_xor_b32_e32 v35, v43, v35
	v_alignbit_b32 v36, v36, v36, 20
	v_add_u32_e32 v28, v25, v28
	v_xor_b32_e32 v30, v27, v30
	v_alignbit_b32 v35, v35, v35, 25
	v_add_u32_e32 v37, v36, v37
	v_xor_b32_e32 v29, v28, v29
	v_alignbit_b32 v30, v30, v30, 24
	v_add_u32_e32 v42, v35, v37
	v_alignbit_b32 v29, v29, v29, 24
	v_add_u32_e32 v31, v30, v31
	v_xor_b32_e32 v33, v42, v29
	v_xor_b32_e32 v26, v31, v26
	v_alignbit_b32 v33, v33, v33, 16
	v_alignbit_b32 v26, v26, v26, 25
	v_xor_b32_e32 v37, v37, v38
	v_add_u32_e32 v34, v33, v31
	v_add_u32_e32 v31, v26, v41
	v_alignbit_b32 v37, v37, v37, 24
	v_xor_b32_e32 v38, v31, v37
	v_add_u32_e32 v29, v29, v32
	v_add_u32_e32 v37, v37, v39
	v_xor_b32_e32 v25, v29, v25
	v_xor_b32_e32 v36, v37, v36
	v_alignbit_b32 v25, v25, v25, 25
	v_alignbit_b32 v36, v36, v36, 25
	v_alignbit_b32 v38, v38, v38, 16
	v_add_u32_e32 v27, v25, v27
	v_add_u32_e32 v28, v36, v28
	v_xor_b32_e32 v35, v34, v35
	v_add_u32_e32 v32, v38, v29
	v_xor_b32_e32 v29, v27, v40
	v_xor_b32_e32 v30, v28, v30
	v_alignbit_b32 v35, v35, v35, 20
	v_alignbit_b32 v29, v29, v29, 16
	v_alignbit_b32 v30, v30, v30, 16
	v_add_u32_e32 v42, v35, v42
	v_add_u32_e32 v39, v29, v37
	v_add_u32_e32 v37, v30, v43
	v_xor_b32_e32 v33, v42, v33
	v_xor_b32_e32 v36, v37, v36
	v_alignbit_b32 v33, v33, v33, 24
	v_xor_b32_e32 v25, v39, v25
	v_alignbit_b32 v36, v36, v36, 20
	v_add_u32_e32 v34, v33, v34
	v_xor_b32_e32 v26, v32, v26
	v_alignbit_b32 v25, v25, v25, 20
	v_add_u32_e32 v28, v36, v28
	v_xor_b32_e32 v35, v34, v35
	v_alignbit_b32 v26, v26, v26, 20
	v_add_u32_e32 v27, v25, v27
	v_xor_b32_e32 v30, v28, v30
	v_alignbit_b32 v35, v35, v35, 25
	v_add_u32_e32 v31, v26, v31
	v_xor_b32_e32 v29, v27, v29
	v_alignbit_b32 v30, v30, v30, 24
	v_add_u32_e32 v41, v35, v31
	v_alignbit_b32 v29, v29, v29, 24
	v_add_u32_e32 v37, v30, v37
	v_xor_b32_e32 v40, v41, v29
	v_xor_b32_e32 v36, v37, v36
	v_alignbit_b32 v40, v40, v40, 16
	v_alignbit_b32 v36, v36, v36, 25
	v_xor_b32_e32 v31, v31, v38
	v_add_u32_e32 v43, v40, v37
	v_add_u32_e32 v37, v36, v42
	v_alignbit_b32 v31, v31, v31, 24
	v_xor_b32_e32 v38, v37, v31
	v_add_u32_e32 v29, v29, v39
	v_add_u32_e32 v31, v31, v32
	v_xor_b32_e32 v25, v29, v25
	v_xor_b32_e32 v26, v31, v26
	v_alignbit_b32 v25, v25, v25, 25
	v_alignbit_b32 v26, v26, v26, 25
	v_alignbit_b32 v38, v38, v38, 16
	v_add_u32_e32 v28, v25, v28
	v_add_u32_e32 v27, v26, v27
	v_xor_b32_e32 v35, v43, v35
	v_add_u32_e32 v39, v38, v29
	v_xor_b32_e32 v29, v28, v33
	v_xor_b32_e32 v30, v27, v30
	v_alignbit_b32 v35, v35, v35, 20
	v_alignbit_b32 v29, v29, v29, 16
	v_alignbit_b32 v30, v30, v30, 16
	v_add_u32_e32 v41, v35, v41
	v_add_u32_e32 v32, v29, v31
	v_add_u32_e32 v31, v30, v34
	v_xor_b32_e32 v40, v41, v40
	v_xor_b32_e32 v26, v31, v26
	v_alignbit_b32 v40, v40, v40, 24
	v_xor_b32_e32 v25, v32, v25
	v_alignbit_b32 v26, v26, v26, 20
	v_add_u32_e32 v43, v40, v43
	v_xor_b32_e32 v36, v39, v36
	v_alignbit_b32 v25, v25, v25, 20
	v_add_u32_e32 v27, v26, v27
	v_xor_b32_e32 v35, v43, v35
	v_alignbit_b32 v36, v36, v36, 20
	v_add_u32_e32 v28, v25, v28
	v_xor_b32_e32 v30, v27, v30
	v_alignbit_b32 v35, v35, v35, 25
	v_add_u32_e32 v37, v36, v37
	v_xor_b32_e32 v29, v28, v29
	v_alignbit_b32 v30, v30, v30, 24
	v_add_u32_e32 v42, v35, v37
	v_alignbit_b32 v29, v29, v29, 24
	v_add_u32_e32 v31, v30, v31
	v_xor_b32_e32 v33, v42, v29
	v_xor_b32_e32 v26, v31, v26
	v_alignbit_b32 v33, v33, v33, 16
	v_alignbit_b32 v26, v26, v26, 25
	v_xor_b32_e32 v37, v37, v38
	v_add_u32_e32 v34, v33, v31
	v_add_u32_e32 v31, v26, v41
	v_alignbit_b32 v37, v37, v37, 24
	v_xor_b32_e32 v38, v31, v37
	v_add_u32_e32 v29, v29, v32
	v_add_u32_e32 v37, v37, v39
	v_xor_b32_e32 v25, v29, v25
	v_xor_b32_e32 v36, v37, v36
	v_alignbit_b32 v25, v25, v25, 25
	v_alignbit_b32 v36, v36, v36, 25
	v_alignbit_b32 v38, v38, v38, 16
	v_add_u32_e32 v27, v25, v27
	v_add_u32_e32 v28, v36, v28
	v_xor_b32_e32 v35, v34, v35
	v_add_u32_e32 v32, v38, v29
	v_xor_b32_e32 v29, v27, v40
	v_xor_b32_e32 v30, v28, v30
	v_alignbit_b32 v35, v35, v35, 20
	v_alignbit_b32 v29, v29, v29, 16
	v_alignbit_b32 v30, v30, v30, 16
	v_add_u32_e32 v42, v35, v42
	v_add_u32_e32 v39, v29, v37
	v_add_u32_e32 v37, v30, v43
	v_xor_b32_e32 v33, v42, v33
	v_xor_b32_e32 v36, v37, v36
	v_alignbit_b32 v33, v33, v33, 24
	v_xor_b32_e32 v25, v39, v25
	v_alignbit_b32 v36, v36, v36, 20
	v_add_u32_e32 v34, v33, v34
	v_xor_b32_e32 v26, v32, v26
	v_alignbit_b32 v25, v25, v25, 20
	v_add_u32_e32 v28, v36, v28
	v_xor_b32_e32 v35, v34, v35
	v_alignbit_b32 v26, v26, v26, 20
	v_add_u32_e32 v27, v25, v27
	v_xor_b32_e32 v30, v28, v30
	v_alignbit_b32 v35, v35, v35, 25
	v_add_u32_e32 v31, v26, v31
	v_xor_b32_e32 v29, v27, v29
	v_alignbit_b32 v30, v30, v30, 24
	v_add_u32_e32 v41, v35, v31
	v_alignbit_b32 v29, v29, v29, 24
	v_add_u32_e32 v37, v30, v37
	v_xor_b32_e32 v40, v41, v29
	v_xor_b32_e32 v36, v37, v36
	v_alignbit_b32 v40, v40, v40, 16
	v_alignbit_b32 v36, v36, v36, 25
	v_xor_b32_e32 v31, v31, v38
	v_add_u32_e32 v43, v40, v37
	v_add_u32_e32 v37, v36, v42
	v_alignbit_b32 v31, v31, v31, 24
	v_xor_b32_e32 v38, v37, v31
	v_add_u32_e32 v29, v29, v39
	v_add_u32_e32 v31, v31, v32
	v_xor_b32_e32 v25, v29, v25
	v_xor_b32_e32 v26, v31, v26
	v_alignbit_b32 v25, v25, v25, 25
	v_alignbit_b32 v26, v26, v26, 25
	v_alignbit_b32 v38, v38, v38, 16
	v_add_u32_e32 v28, v25, v28
	v_add_u32_e32 v27, v26, v27
	v_xor_b32_e32 v35, v43, v35
	v_add_u32_e32 v39, v38, v29
	v_xor_b32_e32 v29, v28, v33
	v_xor_b32_e32 v30, v27, v30
	v_alignbit_b32 v35, v35, v35, 20
	v_alignbit_b32 v29, v29, v29, 16
	v_alignbit_b32 v30, v30, v30, 16
	v_add_u32_e32 v41, v35, v41
	v_add_u32_e32 v32, v29, v31
	v_add_u32_e32 v31, v30, v34
	v_xor_b32_e32 v40, v41, v40
	v_xor_b32_e32 v26, v31, v26
	v_alignbit_b32 v40, v40, v40, 24
	v_xor_b32_e32 v25, v32, v25
	v_alignbit_b32 v26, v26, v26, 20
	v_add_u32_e32 v43, v40, v43
	v_xor_b32_e32 v36, v39, v36
	v_alignbit_b32 v25, v25, v25, 20
	v_add_u32_e32 v27, v26, v27
	;; [unrolled: 3-line block ×5, first 2 shown]
	v_alignbit_b32 v29, v29, v29, 24
	v_add_u32_e32 v31, v30, v31
	v_xor_b32_e32 v33, v42, v29
	v_xor_b32_e32 v26, v31, v26
	v_alignbit_b32 v33, v33, v33, 16
	v_alignbit_b32 v26, v26, v26, 25
	v_xor_b32_e32 v37, v37, v38
	v_add_u32_e32 v29, v29, v32
	v_add_u32_e32 v34, v33, v31
	;; [unrolled: 1-line block ×3, first 2 shown]
	v_alignbit_b32 v37, v37, v37, 24
	v_xor_b32_e32 v25, v29, v25
	v_xor_b32_e32 v38, v31, v37
	v_alignbit_b32 v25, v25, v25, 25
	v_xor_b32_e32 v35, v34, v35
	v_alignbit_b32 v38, v38, v38, 16
	v_add_u32_e32 v27, v25, v27
	v_alignbit_b32 v35, v35, v35, 20
	v_add_u32_e32 v32, v38, v29
	v_xor_b32_e32 v29, v27, v40
	v_add_u32_e32 v42, v35, v42
	v_alignbit_b32 v29, v29, v29, 16
	v_add_u32_e32 v37, v37, v39
	v_xor_b32_e32 v33, v42, v33
	v_add_u32_e32 v39, v29, v37
	v_xor_b32_e32 v36, v37, v36
	v_alignbit_b32 v33, v33, v33, 24
	v_xor_b32_e32 v25, v39, v25
	v_alignbit_b32 v36, v36, v36, 25
	v_add_u32_e32 v34, v33, v34
	v_xor_b32_e32 v26, v32, v26
	v_alignbit_b32 v25, v25, v25, 20
	v_add_u32_e32 v28, v36, v28
	;; [unrolled: 3-line block ×5, first 2 shown]
	v_alignbit_b32 v29, v29, v29, 24
	v_add_u32_e32 v37, v30, v43
	v_xor_b32_e32 v40, v41, v29
	v_xor_b32_e32 v36, v37, v36
	v_add_u32_e32 v29, v29, v39
	v_alignbit_b32 v36, v36, v36, 20
	v_xor_b32_e32 v25, v29, v25
	v_add_u32_e32 v28, v36, v28
	v_alignbit_b32 v25, v25, v25, 25
	v_xor_b32_e32 v30, v28, v30
	v_add_u32_e32 v28, v25, v28
	v_xor_b32_e32 v31, v31, v38
	v_alignbit_b32 v30, v30, v30, 24
	v_xor_b32_e32 v33, v28, v33
	v_alignbit_b32 v31, v31, v31, 24
	v_add_u32_e32 v37, v30, v37
	v_alignbit_b32 v33, v33, v33, 16
	v_add_u32_e32 v32, v31, v32
	v_add_u32_e32 v38, v33, v32
	v_xor_b32_e32 v26, v32, v26
	v_xor_b32_e32 v36, v37, v36
	v_alignbit_b32 v40, v40, v40, 16
	v_xor_b32_e32 v25, v38, v25
	v_alignbit_b32 v26, v26, v26, 25
	v_alignbit_b32 v36, v36, v36, 25
	v_add_u32_e32 v43, v40, v37
	v_alignbit_b32 v25, v25, v25, 20
	v_add_u32_e32 v27, v26, v27
	v_add_u32_e32 v37, v36, v42
	;; [unrolled: 1-line block ×3, first 2 shown]
	v_xor_b32_e32 v30, v27, v30
	v_xor_b32_e32 v31, v37, v31
	;; [unrolled: 1-line block ×3, first 2 shown]
	v_alignbit_b32 v30, v30, v30, 16
	v_alignbit_b32 v31, v31, v31, 16
	v_xor_b32_e32 v35, v43, v35
	v_alignbit_b32 v33, v33, v33, 24
	v_add_u32_e32 v32, v30, v34
	v_add_u32_e32 v29, v31, v29
	v_alignbit_b32 v35, v35, v35, 20
	v_add_u32_e32 v38, v33, v38
	v_xor_b32_e32 v26, v32, v26
	v_xor_b32_e32 v36, v29, v36
	v_add_u32_e32 v41, v35, v41
	v_xor_b32_e32 v25, v38, v25
	v_alignbit_b32 v26, v26, v26, 20
	v_alignbit_b32 v36, v36, v36, 20
	v_xor_b32_e32 v40, v41, v40
	v_alignbit_b32 v25, v25, v25, 25
	v_add_u32_e32 v27, v26, v27
	v_add_u32_e32 v37, v36, v37
	v_alignbit_b32 v40, v40, v40, 24
	v_add_u32_e32 v34, v25, v27
	v_xor_b32_e32 v31, v37, v31
	v_xor_b32_e32 v39, v34, v40
	v_alignbit_b32 v31, v31, v31, 24
	v_alignbit_b32 v39, v39, v39, 16
	v_add_u32_e32 v29, v31, v29
	v_add_u32_e32 v42, v39, v29
	v_xor_b32_e32 v29, v29, v36
	v_xor_b32_e32 v27, v27, v30
	v_alignbit_b32 v29, v29, v29, 25
	v_alignbit_b32 v27, v27, v27, 24
	v_add_u32_e32 v28, v29, v28
	v_xor_b32_e32 v25, v42, v25
	v_add_u32_e32 v30, v27, v32
	v_xor_b32_e32 v27, v28, v27
	v_alignbit_b32 v25, v25, v25, 20
	v_xor_b32_e32 v26, v30, v26
	v_add_u32_e32 v40, v40, v43
	v_alignbit_b32 v27, v27, v27, 16
	v_add_u32_e32 v34, v25, v34
	v_alignbit_b32 v26, v26, v26, 25
	v_xor_b32_e32 v35, v40, v35
	v_add_u32_e32 v36, v27, v40
	v_xor_b32_e32 v39, v34, v39
	v_add_u32_e32 v32, v26, v41
	v_alignbit_b32 v35, v35, v35, 25
	v_xor_b32_e32 v29, v36, v29
	v_alignbit_b32 v39, v39, v39, 24
	v_xor_b32_e32 v31, v32, v31
	v_add_u32_e32 v37, v35, v37
	v_alignbit_b32 v29, v29, v29, 20
	v_add_u32_e32 v34, 0x61707865, v34
	v_alignbit_b32 v31, v31, v31, 16
	v_xor_b32_e32 v33, v37, v33
	v_add_u32_e32 v28, v29, v28
	v_add_u32_e32 v40, v39, v42
	v_lshrrev_b32_sdwa v41, v22, v34 dst_sel:BYTE_1 dst_unused:UNUSED_PAD src0_sel:DWORD src1_sel:DWORD
	v_lshrrev_b32_e32 v42, 24, v34
	v_add_u32_e32 v38, v31, v38
	v_alignbit_b32 v33, v33, v33, 16
	v_xor_b32_e32 v27, v28, v27
	v_add_u32_e32 v28, 0x3320646e, v28
	v_or_b32_sdwa v41, v34, v41 dst_sel:DWORD dst_unused:UNUSED_PAD src0_sel:BYTE_0 src1_sel:DWORD
	v_lshlrev_b16_e32 v42, 8, v42
	v_and_b32_sdwa v34, v34, s8 dst_sel:DWORD dst_unused:UNUSED_PAD src0_sel:WORD_1 src1_sel:DWORD
	v_xor_b32_e32 v26, v38, v26
	v_add_u32_e32 v30, v33, v30
	v_lshrrev_b32_sdwa v43, v22, v28 dst_sel:BYTE_1 dst_unused:UNUSED_PAD src0_sel:DWORD src1_sel:DWORD
	v_lshrrev_b32_e32 v44, 24, v28
	v_or_b32_sdwa v34, v34, v42 dst_sel:WORD_1 dst_unused:UNUSED_PAD src0_sel:DWORD src1_sel:DWORD
	v_alignbit_b32 v26, v26, v26, 20
	v_xor_b32_e32 v35, v30, v35
	v_or_b32_sdwa v34, v41, v34 dst_sel:DWORD dst_unused:UNUSED_PAD src0_sel:WORD_0 src1_sel:DWORD
	v_or_b32_sdwa v41, v28, v43 dst_sel:DWORD dst_unused:UNUSED_PAD src0_sel:BYTE_0 src1_sel:DWORD
	v_lshlrev_b16_e32 v42, 8, v44
	v_and_b32_sdwa v28, v28, s8 dst_sel:DWORD dst_unused:UNUSED_PAD src0_sel:WORD_1 src1_sel:DWORD
	v_add_u32_e32 v32, v26, v32
	v_alignbit_b32 v35, v35, v35, 20
	v_or_b32_sdwa v28, v28, v42 dst_sel:WORD_1 dst_unused:UNUSED_PAD src0_sel:DWORD src1_sel:DWORD
	v_xor_b32_e32 v31, v32, v31
	v_add_u32_e32 v37, v35, v37
	v_or_b32_sdwa v28, v41, v28 dst_sel:DWORD dst_unused:UNUSED_PAD src0_sel:WORD_0 src1_sel:DWORD
	v_alignbit_b32 v31, v31, v31, 24
	buffer_store_dword v28, off, s[0:3], 0 offset:68
	buffer_store_dword v34, off, s[0:3], 0 offset:64
	v_add_u32_e32 v28, 0x6b206574, v32
	v_add_u32_e32 v32, 0x79622d32, v37
	v_xor_b32_e32 v33, v37, v33
	v_add_u32_e32 v38, v31, v38
	v_lshrrev_b32_sdwa v34, v22, v32 dst_sel:BYTE_1 dst_unused:UNUSED_PAD src0_sel:DWORD src1_sel:DWORD
	v_lshrrev_b32_e32 v37, 24, v32
	v_lshrrev_b32_sdwa v41, v22, v28 dst_sel:BYTE_1 dst_unused:UNUSED_PAD src0_sel:DWORD src1_sel:DWORD
	v_lshrrev_b32_e32 v42, 24, v28
	v_xor_b32_e32 v26, v38, v26
	v_or_b32_sdwa v41, v28, v41 dst_sel:DWORD dst_unused:UNUSED_PAD src0_sel:BYTE_0 src1_sel:DWORD
	v_lshlrev_b16_e32 v42, 8, v42
	v_and_b32_sdwa v28, v28, s8 dst_sel:DWORD dst_unused:UNUSED_PAD src0_sel:WORD_1 src1_sel:DWORD
	v_or_b32_sdwa v34, v32, v34 dst_sel:DWORD dst_unused:UNUSED_PAD src0_sel:BYTE_0 src1_sel:DWORD
	v_lshlrev_b16_e32 v37, 8, v37
	v_and_b32_sdwa v32, v32, s8 dst_sel:DWORD dst_unused:UNUSED_PAD src0_sel:WORD_1 src1_sel:DWORD
	v_alignbit_b32 v26, v26, v26, 25
	v_or_b32_sdwa v28, v28, v42 dst_sel:WORD_1 dst_unused:UNUSED_PAD src0_sel:DWORD src1_sel:DWORD
	v_or_b32_sdwa v32, v32, v37 dst_sel:WORD_1 dst_unused:UNUSED_PAD src0_sel:DWORD src1_sel:DWORD
	v_xor_b32_e32 v25, v40, v25
	v_or_b32_sdwa v28, v41, v28 dst_sel:DWORD dst_unused:UNUSED_PAD src0_sel:WORD_0 src1_sel:DWORD
	v_or_b32_sdwa v32, v34, v32 dst_sel:DWORD dst_unused:UNUSED_PAD src0_sel:WORD_0 src1_sel:DWORD
	v_add_u32_e32 v26, v26, v1
	v_alignbit_b32 v25, v25, v25, 25
	buffer_store_dword v32, off, s[0:3], 0 offset:72
	buffer_store_dword v28, off, s[0:3], 0 offset:76
	v_lshrrev_b32_sdwa v28, v22, v26 dst_sel:BYTE_1 dst_unused:UNUSED_PAD src0_sel:DWORD src1_sel:DWORD
	v_lshrrev_b32_e32 v32, 24, v26
	v_add_u32_e32 v25, v25, v2
	v_or_b32_sdwa v28, v26, v28 dst_sel:DWORD dst_unused:UNUSED_PAD src0_sel:BYTE_0 src1_sel:DWORD
	v_lshlrev_b16_e32 v32, 8, v32
	v_and_b32_sdwa v26, v26, s8 dst_sel:DWORD dst_unused:UNUSED_PAD src0_sel:WORD_1 src1_sel:DWORD
	v_alignbit_b32 v33, v33, v33, 24
	v_alignbit_b32 v27, v27, v27, 24
	v_lshrrev_b32_sdwa v34, v22, v25 dst_sel:BYTE_1 dst_unused:UNUSED_PAD src0_sel:DWORD src1_sel:DWORD
	v_lshrrev_b32_e32 v37, 24, v25
	v_or_b32_sdwa v26, v26, v32 dst_sel:WORD_1 dst_unused:UNUSED_PAD src0_sel:DWORD src1_sel:DWORD
	v_add_u32_e32 v36, v27, v36
	v_add_u32_e32 v30, v33, v30
	v_or_b32_sdwa v26, v28, v26 dst_sel:DWORD dst_unused:UNUSED_PAD src0_sel:WORD_0 src1_sel:DWORD
	v_or_b32_sdwa v28, v25, v34 dst_sel:DWORD dst_unused:UNUSED_PAD src0_sel:BYTE_0 src1_sel:DWORD
	v_lshlrev_b16_e32 v32, 8, v37
	v_and_b32_sdwa v25, v25, s8 dst_sel:DWORD dst_unused:UNUSED_PAD src0_sel:WORD_1 src1_sel:DWORD
	v_xor_b32_e32 v35, v30, v35
	v_xor_b32_e32 v29, v36, v29
	v_or_b32_sdwa v25, v25, v32 dst_sel:WORD_1 dst_unused:UNUSED_PAD src0_sel:DWORD src1_sel:DWORD
	v_alignbit_b32 v35, v35, v35, 25
	v_alignbit_b32 v29, v29, v29, 25
	v_or_b32_sdwa v25, v28, v25 dst_sel:DWORD dst_unused:UNUSED_PAD src0_sel:WORD_0 src1_sel:DWORD
	buffer_store_dword v25, off, s[0:3], 0 offset:84
	buffer_store_dword v26, off, s[0:3], 0 offset:80
	v_add_u32_e32 v25, v35, v4
	v_add_u32_e32 v26, v29, v3
	v_lshrrev_b32_sdwa v28, v22, v26 dst_sel:BYTE_1 dst_unused:UNUSED_PAD src0_sel:DWORD src1_sel:DWORD
	v_lshrrev_b32_e32 v29, 24, v26
	v_lshrrev_b32_sdwa v32, v22, v25 dst_sel:BYTE_1 dst_unused:UNUSED_PAD src0_sel:DWORD src1_sel:DWORD
	v_lshrrev_b32_e32 v34, 24, v25
	v_or_b32_sdwa v32, v25, v32 dst_sel:DWORD dst_unused:UNUSED_PAD src0_sel:BYTE_0 src1_sel:DWORD
	v_lshlrev_b16_e32 v34, 8, v34
	v_and_b32_sdwa v25, v25, s8 dst_sel:DWORD dst_unused:UNUSED_PAD src0_sel:WORD_1 src1_sel:DWORD
	v_or_b32_sdwa v28, v26, v28 dst_sel:DWORD dst_unused:UNUSED_PAD src0_sel:BYTE_0 src1_sel:DWORD
	v_lshlrev_b16_e32 v29, 8, v29
	v_and_b32_sdwa v26, v26, s8 dst_sel:DWORD dst_unused:UNUSED_PAD src0_sel:WORD_1 src1_sel:DWORD
	v_or_b32_sdwa v25, v25, v34 dst_sel:WORD_1 dst_unused:UNUSED_PAD src0_sel:DWORD src1_sel:DWORD
	v_or_b32_sdwa v26, v26, v29 dst_sel:WORD_1 dst_unused:UNUSED_PAD src0_sel:DWORD src1_sel:DWORD
	v_or_b32_sdwa v25, v32, v25 dst_sel:DWORD dst_unused:UNUSED_PAD src0_sel:WORD_0 src1_sel:DWORD
	v_or_b32_sdwa v26, v28, v26 dst_sel:DWORD dst_unused:UNUSED_PAD src0_sel:WORD_0 src1_sel:DWORD
	buffer_store_dword v25, off, s[0:3], 0 offset:92
	buffer_store_dword v26, off, s[0:3], 0 offset:88
	v_add_u32_e32 v26, v30, v5
	v_add_u32_e32 v25, v38, v6
	v_lshrrev_b32_sdwa v28, v22, v26 dst_sel:BYTE_1 dst_unused:UNUSED_PAD src0_sel:DWORD src1_sel:DWORD
	v_lshrrev_b32_e32 v29, 24, v26
	v_lshrrev_b32_sdwa v30, v22, v25 dst_sel:BYTE_1 dst_unused:UNUSED_PAD src0_sel:DWORD src1_sel:DWORD
	v_lshrrev_b32_e32 v32, 24, v25
	v_or_b32_sdwa v28, v26, v28 dst_sel:DWORD dst_unused:UNUSED_PAD src0_sel:BYTE_0 src1_sel:DWORD
	v_lshlrev_b16_e32 v29, 8, v29
	v_and_b32_sdwa v26, v26, s8 dst_sel:DWORD dst_unused:UNUSED_PAD src0_sel:WORD_1 src1_sel:DWORD
	v_or_b32_sdwa v30, v25, v30 dst_sel:DWORD dst_unused:UNUSED_PAD src0_sel:BYTE_0 src1_sel:DWORD
	v_lshlrev_b16_e32 v32, 8, v32
	v_and_b32_sdwa v25, v25, s8 dst_sel:DWORD dst_unused:UNUSED_PAD src0_sel:WORD_1 src1_sel:DWORD
	v_or_b32_sdwa v26, v26, v29 dst_sel:WORD_1 dst_unused:UNUSED_PAD src0_sel:DWORD src1_sel:DWORD
	v_or_b32_sdwa v25, v25, v32 dst_sel:WORD_1 dst_unused:UNUSED_PAD src0_sel:DWORD src1_sel:DWORD
	v_or_b32_sdwa v26, v28, v26 dst_sel:DWORD dst_unused:UNUSED_PAD src0_sel:WORD_0 src1_sel:DWORD
	v_or_b32_sdwa v25, v30, v25 dst_sel:DWORD dst_unused:UNUSED_PAD src0_sel:WORD_0 src1_sel:DWORD
	buffer_store_dword v26, off, s[0:3], 0 offset:96
	buffer_store_dword v25, off, s[0:3], 0 offset:100
	v_add_u32_e32 v26, v40, v7
	v_lshrrev_b32_sdwa v28, v22, v26 dst_sel:BYTE_1 dst_unused:UNUSED_PAD src0_sel:DWORD src1_sel:DWORD
	v_lshrrev_b32_e32 v29, 24, v26
	v_add_u32_e32 v25, v36, v8
	v_or_b32_sdwa v28, v26, v28 dst_sel:DWORD dst_unused:UNUSED_PAD src0_sel:BYTE_0 src1_sel:DWORD
	v_lshlrev_b16_e32 v29, 8, v29
	v_and_b32_sdwa v26, v26, s8 dst_sel:DWORD dst_unused:UNUSED_PAD src0_sel:WORD_1 src1_sel:DWORD
	v_lshrrev_b32_sdwa v30, v22, v25 dst_sel:BYTE_1 dst_unused:UNUSED_PAD src0_sel:DWORD src1_sel:DWORD
	v_lshrrev_b32_e32 v32, 24, v25
	v_or_b32_sdwa v26, v26, v29 dst_sel:WORD_1 dst_unused:UNUSED_PAD src0_sel:DWORD src1_sel:DWORD
	v_or_b32_sdwa v26, v28, v26 dst_sel:DWORD dst_unused:UNUSED_PAD src0_sel:WORD_0 src1_sel:DWORD
	v_or_b32_sdwa v28, v25, v30 dst_sel:DWORD dst_unused:UNUSED_PAD src0_sel:BYTE_0 src1_sel:DWORD
	v_lshlrev_b16_e32 v29, 8, v32
	v_and_b32_sdwa v25, v25, s8 dst_sel:DWORD dst_unused:UNUSED_PAD src0_sel:WORD_1 src1_sel:DWORD
	v_or_b32_sdwa v25, v25, v29 dst_sel:WORD_1 dst_unused:UNUSED_PAD src0_sel:DWORD src1_sel:DWORD
	v_add_co_u32_e32 v24, vcc, 1, v23
	v_or_b32_sdwa v25, v28, v25 dst_sel:DWORD dst_unused:UNUSED_PAD src0_sel:WORD_0 src1_sel:DWORD
	v_add_u32_e32 v23, v27, v23
	buffer_store_dword v25, off, s[0:3], 0 offset:108
	buffer_store_dword v26, off, s[0:3], 0 offset:104
	v_lshrrev_b32_sdwa v26, v22, v23 dst_sel:BYTE_1 dst_unused:UNUSED_PAD src0_sel:DWORD src1_sel:DWORD
	v_lshrrev_b32_e32 v27, 24, v23
	v_add_u32_e32 v25, s9, v33
	v_or_b32_sdwa v26, v23, v26 dst_sel:DWORD dst_unused:UNUSED_PAD src0_sel:BYTE_0 src1_sel:DWORD
	v_lshlrev_b16_e32 v27, 8, v27
	v_and_b32_sdwa v23, v23, s8 dst_sel:DWORD dst_unused:UNUSED_PAD src0_sel:WORD_1 src1_sel:DWORD
	v_lshrrev_b32_sdwa v28, v22, v25 dst_sel:BYTE_1 dst_unused:UNUSED_PAD src0_sel:DWORD src1_sel:DWORD
	v_lshrrev_b32_e32 v29, 24, v25
	v_or_b32_sdwa v23, v23, v27 dst_sel:WORD_1 dst_unused:UNUSED_PAD src0_sel:DWORD src1_sel:DWORD
	v_or_b32_sdwa v23, v26, v23 dst_sel:DWORD dst_unused:UNUSED_PAD src0_sel:WORD_0 src1_sel:DWORD
	v_or_b32_sdwa v26, v25, v28 dst_sel:DWORD dst_unused:UNUSED_PAD src0_sel:BYTE_0 src1_sel:DWORD
	v_lshlrev_b16_e32 v27, 8, v29
	v_and_b32_sdwa v25, v25, s8 dst_sel:DWORD dst_unused:UNUSED_PAD src0_sel:WORD_1 src1_sel:DWORD
	v_or_b32_sdwa v25, v25, v27 dst_sel:WORD_1 dst_unused:UNUSED_PAD src0_sel:DWORD src1_sel:DWORD
	v_or_b32_sdwa v25, v26, v25 dst_sel:DWORD dst_unused:UNUSED_PAD src0_sel:WORD_0 src1_sel:DWORD
	buffer_store_dword v25, off, s[0:3], 0 offset:116
	buffer_store_dword v23, off, s[0:3], 0 offset:112
	v_add_u32_e32 v25, v31, v9
	v_lshrrev_b32_sdwa v26, v22, v25 dst_sel:BYTE_1 dst_unused:UNUSED_PAD src0_sel:DWORD src1_sel:DWORD
	v_lshrrev_b32_e32 v27, 24, v25
	v_add_u32_e32 v23, v39, v10
	v_or_b32_sdwa v26, v25, v26 dst_sel:DWORD dst_unused:UNUSED_PAD src0_sel:BYTE_0 src1_sel:DWORD
	v_lshlrev_b16_e32 v27, 8, v27
	v_and_b32_sdwa v25, v25, s8 dst_sel:DWORD dst_unused:UNUSED_PAD src0_sel:WORD_1 src1_sel:DWORD
	v_lshrrev_b32_sdwa v28, v22, v23 dst_sel:BYTE_1 dst_unused:UNUSED_PAD src0_sel:DWORD src1_sel:DWORD
	v_lshrrev_b32_e32 v29, 24, v23
	v_or_b32_sdwa v25, v25, v27 dst_sel:WORD_1 dst_unused:UNUSED_PAD src0_sel:DWORD src1_sel:DWORD
	v_or_b32_sdwa v25, v26, v25 dst_sel:DWORD dst_unused:UNUSED_PAD src0_sel:WORD_0 src1_sel:DWORD
	v_or_b32_sdwa v26, v23, v28 dst_sel:DWORD dst_unused:UNUSED_PAD src0_sel:BYTE_0 src1_sel:DWORD
	v_lshlrev_b16_e32 v27, 8, v29
	v_and_b32_sdwa v23, v23, s8 dst_sel:DWORD dst_unused:UNUSED_PAD src0_sel:WORD_1 src1_sel:DWORD
	s_cmp_lg_u64 vcc, 0
	v_or_b32_sdwa v23, v23, v27 dst_sel:WORD_1 dst_unused:UNUSED_PAD src0_sel:DWORD src1_sel:DWORD
	s_addc_u32 s10, s9, 0
	v_or_b32_sdwa v23, v26, v23 dst_sel:DWORD dst_unused:UNUSED_PAD src0_sel:WORD_0 src1_sel:DWORD
	buffer_store_dword v23, off, s[0:3], 0 offset:124
	buffer_store_dword v25, off, s[0:3], 0 offset:120
	s_mov_b64 s[6:7], 0
	s_mov_b32 s9, s10
	v_mov_b32_e32 v23, v24
	s_branch .LBB0_27
.LBB0_30:
	s_endpgm
	.section	.rodata,"a",@progbits
	.p2align	6, 0x0
	.amdhsa_kernel _Z15test_keystreamsPKcS0_S0_PKhPhS3_S3_S3_iii
		.amdhsa_group_segment_fixed_size 0
		.amdhsa_private_segment_fixed_size 144
		.amdhsa_kernarg_size 336
		.amdhsa_user_sgpr_count 8
		.amdhsa_user_sgpr_private_segment_buffer 1
		.amdhsa_user_sgpr_dispatch_ptr 0
		.amdhsa_user_sgpr_queue_ptr 0
		.amdhsa_user_sgpr_kernarg_segment_ptr 1
		.amdhsa_user_sgpr_dispatch_id 0
		.amdhsa_user_sgpr_flat_scratch_init 1
		.amdhsa_user_sgpr_kernarg_preload_length 0
		.amdhsa_user_sgpr_kernarg_preload_offset 0
		.amdhsa_user_sgpr_private_segment_size 0
		.amdhsa_uses_dynamic_stack 0
		.amdhsa_system_sgpr_private_segment_wavefront_offset 1
		.amdhsa_system_sgpr_workgroup_id_x 1
		.amdhsa_system_sgpr_workgroup_id_y 0
		.amdhsa_system_sgpr_workgroup_id_z 0
		.amdhsa_system_sgpr_workgroup_info 0
		.amdhsa_system_vgpr_workitem_id 0
		.amdhsa_next_free_vgpr 59
		.amdhsa_next_free_sgpr 42
		.amdhsa_accum_offset 60
		.amdhsa_reserve_vcc 1
		.amdhsa_reserve_flat_scratch 0
		.amdhsa_float_round_mode_32 0
		.amdhsa_float_round_mode_16_64 0
		.amdhsa_float_denorm_mode_32 3
		.amdhsa_float_denorm_mode_16_64 3
		.amdhsa_dx10_clamp 1
		.amdhsa_ieee_mode 1
		.amdhsa_fp16_overflow 0
		.amdhsa_tg_split 0
		.amdhsa_exception_fp_ieee_invalid_op 0
		.amdhsa_exception_fp_denorm_src 0
		.amdhsa_exception_fp_ieee_div_zero 0
		.amdhsa_exception_fp_ieee_overflow 0
		.amdhsa_exception_fp_ieee_underflow 0
		.amdhsa_exception_fp_ieee_inexact 0
		.amdhsa_exception_int_div_zero 0
	.end_amdhsa_kernel
	.text
.Lfunc_end0:
	.size	_Z15test_keystreamsPKcS0_S0_PKhPhS3_S3_S3_iii, .Lfunc_end0-_Z15test_keystreamsPKcS0_S0_PKhPhS3_S3_S3_iii
                                        ; -- End function
	.section	.AMDGPU.csdata,"",@progbits
; Kernel info:
; codeLenInByte = 12032
; NumSgprs: 46
; NumVgprs: 59
; NumAgprs: 0
; TotalNumVgprs: 59
; ScratchSize: 144
; MemoryBound: 0
; FloatMode: 240
; IeeeMode: 1
; LDSByteSize: 0 bytes/workgroup (compile time only)
; SGPRBlocks: 5
; VGPRBlocks: 7
; NumSGPRsForWavesPerEU: 46
; NumVGPRsForWavesPerEU: 59
; AccumOffset: 60
; Occupancy: 8
; WaveLimiterHint : 1
; COMPUTE_PGM_RSRC2:SCRATCH_EN: 1
; COMPUTE_PGM_RSRC2:USER_SGPR: 8
; COMPUTE_PGM_RSRC2:TRAP_HANDLER: 0
; COMPUTE_PGM_RSRC2:TGID_X_EN: 1
; COMPUTE_PGM_RSRC2:TGID_Y_EN: 0
; COMPUTE_PGM_RSRC2:TGID_Z_EN: 0
; COMPUTE_PGM_RSRC2:TIDIG_COMP_CNT: 0
; COMPUTE_PGM_RSRC3_GFX90A:ACCUM_OFFSET: 14
; COMPUTE_PGM_RSRC3_GFX90A:TG_SPLIT: 0
	.text
	.p2alignl 6, 3212836864
	.fill 256, 4, 3212836864
	.type	__hip_cuid_7cc77099ba4dd7e,@object ; @__hip_cuid_7cc77099ba4dd7e
	.section	.bss,"aw",@nobits
	.globl	__hip_cuid_7cc77099ba4dd7e
__hip_cuid_7cc77099ba4dd7e:
	.byte	0                               ; 0x0
	.size	__hip_cuid_7cc77099ba4dd7e, 1

	.ident	"AMD clang version 19.0.0git (https://github.com/RadeonOpenCompute/llvm-project roc-6.4.0 25133 c7fe45cf4b819c5991fe208aaa96edf142730f1d)"
	.section	".note.GNU-stack","",@progbits
	.addrsig
	.addrsig_sym __hip_cuid_7cc77099ba4dd7e
	.amdgpu_metadata
---
amdhsa.kernels:
  - .agpr_count:     0
    .args:
      - .actual_access:  read_only
        .address_space:  global
        .offset:         0
        .size:           8
        .value_kind:     global_buffer
      - .actual_access:  read_only
        .address_space:  global
        .offset:         8
        .size:           8
        .value_kind:     global_buffer
      - .actual_access:  read_only
        .address_space:  global
        .offset:         16
        .size:           8
        .value_kind:     global_buffer
      - .actual_access:  read_only
        .address_space:  global
        .offset:         24
        .size:           8
        .value_kind:     global_buffer
      - .address_space:  global
        .offset:         32
        .size:           8
        .value_kind:     global_buffer
      - .address_space:  global
        .offset:         40
        .size:           8
        .value_kind:     global_buffer
      - .actual_access:  write_only
        .address_space:  global
        .offset:         48
        .size:           8
        .value_kind:     global_buffer
      - .address_space:  global
        .offset:         56
        .size:           8
        .value_kind:     global_buffer
      - .offset:         64
        .size:           4
        .value_kind:     by_value
      - .offset:         68
        .size:           4
        .value_kind:     by_value
      - .offset:         72
        .size:           4
        .value_kind:     by_value
      - .offset:         80
        .size:           4
        .value_kind:     hidden_block_count_x
      - .offset:         84
        .size:           4
        .value_kind:     hidden_block_count_y
      - .offset:         88
        .size:           4
        .value_kind:     hidden_block_count_z
      - .offset:         92
        .size:           2
        .value_kind:     hidden_group_size_x
      - .offset:         94
        .size:           2
        .value_kind:     hidden_group_size_y
      - .offset:         96
        .size:           2
        .value_kind:     hidden_group_size_z
      - .offset:         98
        .size:           2
        .value_kind:     hidden_remainder_x
      - .offset:         100
        .size:           2
        .value_kind:     hidden_remainder_y
      - .offset:         102
        .size:           2
        .value_kind:     hidden_remainder_z
      - .offset:         120
        .size:           8
        .value_kind:     hidden_global_offset_x
      - .offset:         128
        .size:           8
        .value_kind:     hidden_global_offset_y
      - .offset:         136
        .size:           8
        .value_kind:     hidden_global_offset_z
      - .offset:         144
        .size:           2
        .value_kind:     hidden_grid_dims
    .group_segment_fixed_size: 0
    .kernarg_segment_align: 8
    .kernarg_segment_size: 336
    .language:       OpenCL C
    .language_version:
      - 2
      - 0
    .max_flat_workgroup_size: 1024
    .name:           _Z15test_keystreamsPKcS0_S0_PKhPhS3_S3_S3_iii
    .private_segment_fixed_size: 144
    .sgpr_count:     46
    .sgpr_spill_count: 0
    .symbol:         _Z15test_keystreamsPKcS0_S0_PKhPhS3_S3_S3_iii.kd
    .uniform_work_group_size: 1
    .uses_dynamic_stack: false
    .vgpr_count:     59
    .vgpr_spill_count: 0
    .wavefront_size: 64
amdhsa.target:   amdgcn-amd-amdhsa--gfx90a
amdhsa.version:
  - 1
  - 2
...

	.end_amdgpu_metadata
